;; amdgpu-corpus repo=ROCm/Tensile kind=harvested arch=n/a opt=n/a

/******************************************/
/* Function Prefix                        */
/******************************************/



/******************************************/
/* Begin Kernel                           */
/******************************************/

// Component.Signature.SignatureDefault
.amdgcn_target "amdgcn-amd-amdhsa--gfx90a"
.text
.protected Cijk_AlikC_BjlkC_ZB_MT96x64x16_MI16x16x4x1_SN_1LDSB1_APM1_ABV0_ACED0_AF0EM1_AF1EM1_AMAS0_ASE_ASGT332_ASLT_ASEM1_AAC0_BL1_BS1_CLR0_DTVA0_DVO0_ETSP_EPS1_EMLL0_FL0_GLVWA1_GLVWB1_GRPM1_GRVW1_GSU1_GSUASB_GLS0_ISA90a_IU1_K1_KLA_LBSPPA256_LBSPPB0_LPA4_LPB0_LDL1_LRVW1_LWPMn1_LDW0_FMA_MIAV0_MO40_MMFGLC_NTA0_NTB0_NTC3_NTD3_NEPBS0_NLCA1_NLCB1_ONLL1_OPLV0_PK0_PAP0_PGR2_PLR1_SIA3_SS1_SU0_SUM0_SUS0_SCIUI1_SPO1_SRVW0_SSO4_SVW1_SNLL0_TSGRA0_TSGRB0_TT3_32_TLDS1_UMLDSA1_UMLDSB0_USFGROn1_VAW1_VSn1_VW1_VWB1_VFLRP0_WSGRA0_WSGRB0_WG32_8_1_WGM7
.globl Cijk_AlikC_BjlkC_ZB_MT96x64x16_MI16x16x4x1_SN_1LDSB1_APM1_ABV0_ACED0_AF0EM1_AF1EM1_AMAS0_ASE_ASGT332_ASLT_ASEM1_AAC0_BL1_BS1_CLR0_DTVA0_DVO0_ETSP_EPS1_EMLL0_FL0_GLVWA1_GLVWB1_GRPM1_GRVW1_GSU1_GSUASB_GLS0_ISA90a_IU1_K1_KLA_LBSPPA256_LBSPPB0_LPA4_LPB0_LDL1_LRVW1_LWPMn1_LDW0_FMA_MIAV0_MO40_MMFGLC_NTA0_NTB0_NTC3_NTD3_NEPBS0_NLCA1_NLCB1_ONLL1_OPLV0_PK0_PAP0_PGR2_PLR1_SIA3_SS1_SU0_SUM0_SUS0_SCIUI1_SPO1_SRVW0_SSO4_SVW1_SNLL0_TSGRA0_TSGRB0_TT3_32_TLDS1_UMLDSA1_UMLDSB0_USFGROn1_VAW1_VSn1_VW1_VWB1_VFLRP0_WSGRA0_WSGRB0_WG32_8_1_WGM7
.p2align 8
.type Cijk_AlikC_BjlkC_ZB_MT96x64x16_MI16x16x4x1_SN_1LDSB1_APM1_ABV0_ACED0_AF0EM1_AF1EM1_AMAS0_ASE_ASGT332_ASLT_ASEM1_AAC0_BL1_BS1_CLR0_DTVA0_DVO0_ETSP_EPS1_EMLL0_FL0_GLVWA1_GLVWB1_GRPM1_GRVW1_GSU1_GSUASB_GLS0_ISA90a_IU1_K1_KLA_LBSPPA256_LBSPPB0_LPA4_LPB0_LDL1_LRVW1_LWPMn1_LDW0_FMA_MIAV0_MO40_MMFGLC_NTA0_NTB0_NTC3_NTD3_NEPBS0_NLCA1_NLCB1_ONLL1_OPLV0_PK0_PAP0_PGR2_PLR1_SIA3_SS1_SU0_SUM0_SUS0_SCIUI1_SPO1_SRVW0_SSO4_SVW1_SNLL0_TSGRA0_TSGRB0_TT3_32_TLDS1_UMLDSA1_UMLDSB0_USFGROn1_VAW1_VSn1_VW1_VWB1_VFLRP0_WSGRA0_WSGRB0_WG32_8_1_WGM7,@function
.section .rodata,#alloc
.p2align 6
.amdhsa_kernel Cijk_AlikC_BjlkC_ZB_MT96x64x16_MI16x16x4x1_SN_1LDSB1_APM1_ABV0_ACED0_AF0EM1_AF1EM1_AMAS0_ASE_ASGT332_ASLT_ASEM1_AAC0_BL1_BS1_CLR0_DTVA0_DVO0_ETSP_EPS1_EMLL0_FL0_GLVWA1_GLVWB1_GRPM1_GRVW1_GSU1_GSUASB_GLS0_ISA90a_IU1_K1_KLA_LBSPPA256_LBSPPB0_LPA4_LPB0_LDL1_LRVW1_LWPMn1_LDW0_FMA_MIAV0_MO40_MMFGLC_NTA0_NTB0_NTC3_NTD3_NEPBS0_NLCA1_NLCB1_ONLL1_OPLV0_PK0_PAP0_PGR2_PLR1_SIA3_SS1_SU0_SUM0_SUS0_SCIUI1_SPO1_SRVW0_SSO4_SVW1_SNLL0_TSGRA0_TSGRB0_TT3_32_TLDS1_UMLDSA1_UMLDSB0_USFGROn1_VAW1_VSn1_VW1_VWB1_VFLRP0_WSGRA0_WSGRB0_WG32_8_1_WGM7
  .amdhsa_user_sgpr_kernarg_segment_ptr 1
  .amdhsa_user_sgpr_kernarg_preload_offset 0
  .amdhsa_user_sgpr_kernarg_preload_length 0
  .amdhsa_user_sgpr_count 2
  .amdhsa_accum_offset 256 // accvgpr offset
  .amdhsa_next_free_vgpr 352 // vgprs
  .amdhsa_next_free_sgpr 72 // sgprs
  .amdhsa_group_segment_fixed_size 47104 // lds bytes
  .amdhsa_private_segment_fixed_size 0
  .amdhsa_system_sgpr_workgroup_id_x 1
  .amdhsa_system_sgpr_workgroup_id_y 1
  .amdhsa_system_sgpr_workgroup_id_z 1
  .amdhsa_system_vgpr_workitem_id 0
  .amdhsa_float_denorm_mode_32 3
  .amdhsa_float_denorm_mode_16_64 3
.end_amdhsa_kernel
.text

/******************************************/
/* Optimizations and Config:              */
/******************************************/
/* ThreadTile= 12 x 2 */
/* SubGroup= 8 x 32 */
/* VectorWidthA=1 */
/* VectorWidthB=1 */
/* GlobalLoadVectorWidthA=1, GlobalLoadVectorWidthB=1 */
/* DirectToLdsA=False */
/* DirectToLdsB=False */
/* UseSgprForGRO=1 */
.amdgpu_metadata
---
amdhsa.version:
  - 1
  - 1
amdhsa.target: amdgcn-amd-amdhsa--gfx90a
amdhsa.kernels:
  - .name: Cijk_AlikC_BjlkC_ZB_MT96x64x16_MI16x16x4x1_SN_1LDSB1_APM1_ABV0_ACED0_AF0EM1_AF1EM1_AMAS0_ASE_ASGT332_ASLT_ASEM1_AAC0_BL1_BS1_CLR0_DTVA0_DVO0_ETSP_EPS1_EMLL0_FL0_GLVWA1_GLVWB1_GRPM1_GRVW1_GSU1_GSUASB_GLS0_ISA90a_IU1_K1_KLA_LBSPPA256_LBSPPB0_LPA4_LPB0_LDL1_LRVW1_LWPMn1_LDW0_FMA_MIAV0_MO40_MMFGLC_NTA0_NTB0_NTC3_NTD3_NEPBS0_NLCA1_NLCB1_ONLL1_OPLV0_PK0_PAP0_PGR2_PLR1_SIA3_SS1_SU0_SUM0_SUS0_SCIUI1_SPO1_SRVW0_SSO4_SVW1_SNLL0_TSGRA0_TSGRB0_TT3_32_TLDS1_UMLDSA1_UMLDSB0_USFGROn1_VAW1_VSn1_VW1_VWB1_VFLRP0_WSGRA0_WSGRB0_WG32_8_1_WGM7
    .symbol: 'Cijk_AlikC_BjlkC_ZB_MT96x64x16_MI16x16x4x1_SN_1LDSB1_APM1_ABV0_ACED0_AF0EM1_AF1EM1_AMAS0_ASE_ASGT332_ASLT_ASEM1_AAC0_BL1_BS1_CLR0_DTVA0_DVO0_ETSP_EPS1_EMLL0_FL0_GLVWA1_GLVWB1_GRPM1_GRVW1_GSU1_GSUASB_GLS0_ISA90a_IU1_K1_KLA_LBSPPA256_LBSPPB0_LPA4_LPB0_LDL1_LRVW1_LWPMn1_LDW0_FMA_MIAV0_MO40_MMFGLC_NTA0_NTB0_NTC3_NTD3_NEPBS0_NLCA1_NLCB1_ONLL1_OPLV0_PK0_PAP0_PGR2_PLR1_SIA3_SS1_SU0_SUM0_SUS0_SCIUI1_SPO1_SRVW0_SSO4_SVW1_SNLL0_TSGRA0_TSGRB0_TT3_32_TLDS1_UMLDSA1_UMLDSB0_USFGROn1_VAW1_VSn1_VW1_VWB1_VFLRP0_WSGRA0_WSGRB0_WG32_8_1_WGM7.kd'
    .language:                   OpenCL C
    .language_version:
      - 2
      - 0
    .args:
      - .name:            Tensor2dSizeA
        .size:            8
        .offset:          0
        .value_kind:      by_value
        .value_type:      u64
      - .name:            Tensor2dSizeB
        .size:            8
        .offset:          8
        .value_kind:      by_value
        .value_type:      u64
      - .name:            AddressD
        .size:            8
        .offset:          16
        .value_kind:      by_value
        .value_type:      u64
      - .name:            AddressC
        .size:            8
        .offset:          24
        .value_kind:      by_value
        .value_type:      u64
      - .name:            AddressA
        .size:            8
        .offset:          32
        .value_kind:      by_value
        .value_type:      u64
      - .name:            AddressB
        .size:            8
        .offset:          40
        .value_kind:      by_value
        .value_type:      u64
      - .name:            Alpha
        .size:            16
        .offset:          48
        .value_kind:      by_value
        .value_type:      u128
      - .name:            Beta
        .size:            16
        .offset:          64
        .value_kind:      by_value
        .value_type:      u128
      - .name:            StridesD
        .size:            8
        .offset:          80
        .value_kind:      by_value
        .value_type:      u64
      - .name:            StridesC
        .size:            8
        .offset:          88
        .value_kind:      by_value
        .value_type:      u64
      - .name:            StridesA
        .size:            8
        .offset:          96
        .value_kind:      by_value
        .value_type:      u64
      - .name:            StridesB
        .size:            8
        .offset:          104
        .value_kind:      by_value
        .value_type:      u64
      - .name:            SizesFree
        .size:            12
        .offset:          112
        .value_kind:      by_value
        .value_type:      u96
      - .name:            SizesSum
        .size:            4
        .offset:          124
        .value_kind:      by_value
        .value_type:      u32
      - .name:            NumWorkGroups0
        .size:            4
        .offset:          128
        .value_kind:      by_value
        .value_type:      u32
      - .name:            NumWorkGroups1
        .size:            4
        .offset:          132
        .value_kind:      by_value
        .value_type:      u32
      - .name:            NumFullBlocks
        .size:            4
        .offset:          136
        .value_kind:      by_value
        .value_type:      u32
      - .name:            WgmRemainder1
        .size:            4
        .offset:          140
        .value_kind:      by_value
        .value_type:      u32
      - .name:            MagicNumberWgmRemainder1
        .size:            4
        .offset:          144
        .value_kind:      by_value
        .value_type:      u32
    .group_segment_fixed_size:   47104
    .kernarg_segment_align:      8
    .kernarg_segment_size:       152
    .max_flat_workgroup_size:    256
    .private_segment_fixed_size: 0
    .sgpr_count:                 72
    .sgpr_spill_count:           0
    .vgpr_count:                 256
    .vgpr_spill_count:           0
    .wavefront_size:             64
...
.end_amdgpu_metadata
Cijk_AlikC_BjlkC_ZB_MT96x64x16_MI16x16x4x1_SN_1LDSB1_APM1_ABV0_ACED0_AF0EM1_AF1EM1_AMAS0_ASE_ASGT332_ASLT_ASEM1_AAC0_BL1_BS1_CLR0_DTVA0_DVO0_ETSP_EPS1_EMLL0_FL0_GLVWA1_GLVWB1_GRPM1_GRVW1_GSU1_GSUASB_GLS0_ISA90a_IU1_K1_KLA_LBSPPA256_LBSPPB0_LPA4_LPB0_LDL1_LRVW1_LWPMn1_LDW0_FMA_MIAV0_MO40_MMFGLC_NTA0_NTB0_NTC3_NTD3_NEPBS0_NLCA1_NLCB1_ONLL1_OPLV0_PK0_PAP0_PGR2_PLR1_SIA3_SS1_SU0_SUM0_SUS0_SCIUI1_SPO1_SRVW0_SSO4_SVW1_SNLL0_TSGRA0_TSGRB0_TT3_32_TLDS1_UMLDSA1_UMLDSB0_USFGROn1_VAW1_VSn1_VW1_VWB1_VFLRP0_WSGRA0_WSGRB0_WG32_8_1_WGM7:

/******************************************/
/* Asm syntax workarounds                 */
/******************************************/
.macro _v_add_co_u32 dst:req, cc:req, src0:req, src1:req, dpp=
   v_add_co_u32 \dst, \cc, \src0, \src1 \dpp
.endm

.macro _v_add_u32 dst:req, src0:req, src1:req, dpp=
   v_add_u32 \dst, \src0, \src1 \dpp
.endm

.macro _v_add_i32 dst:req, src0:req, src1:req, dpp=
   v_add_i32 \dst, \src0, \src1 \dpp
.endm

.macro _v_addc_co_u32 dst:req, ccOut:req, src0:req, ccIn:req, src1:req, dpp=
   v_addc_co_u32 \dst, \ccOut, \src0, \ccIn, \src1 \dpp
.endm

.macro _v_sub_co_u32 dst:req, cc:req, src0:req, src1:req, dpp=
   v_sub_co_u32 \dst, \cc, \src0, \src1 \dpp
.endm

.macro _v_sub_u32 dst:req, src0:req, src1:req, dpp=
   v_sub_u32 \dst, \src0, \src1 \dpp
.endm

.macro _v_sub_i32 dst:req, src0:req, src1:req, dpp=
   v_sub_i32 \dst, \src0, \src1 \dpp
.endm

.macro _v_add_lshl_u32 dst:req, src0:req, src1:req, shiftCnt:req
    v_add_lshl_u32 \dst, \src0, \src1, \shiftCnt
.endm

.macro _v_lshl_add_u32 dst:req, src0:req, src1:req, shiftCnt:req
    v_lshl_add_u32 \dst, \src0, \src1, \shiftCnt
.endm

.macro _v_lshl_or_b32 dst:req, src0:req, shiftCnt:req, src1:req
    v_lshl_or_b32 \dst, \src0, \shiftCnt, \src1
.endm

.macro _v_dot2acc_f32_f16 dst, src0, src1
v_dot2c_f32_f16 \dst, \src0, \src1
.endm

.macro _v_cmpx_lt_i16 dst, src0, src1=
   v_cmpx_lt_i16 \dst, \src0, \src1 
.endm

.macro _v_cmpx_lt_i32 dst, src0, src1=
   v_cmpx_lt_i32 \dst, \src0, \src1 
.endm

.macro _v_cmpx_lt_i64 dst, src0, src1=
   v_cmpx_lt_i64 \dst, \src0, \src1 
.endm

.macro _v_cmpx_lt_u16 dst, src0, src1=
   v_cmpx_lt_u16 \dst, \src0, \src1 
.endm

.macro _v_cmpx_lt_u32 dst, src0, src1=
   v_cmpx_lt_u32 \dst, \src0, \src1 
.endm

.macro _v_cmpx_lt_u64 dst, src0, src1=
   v_cmpx_lt_u64 \dst, \src0, \src1 
.endm

.macro _v_cmpx_eq_i16 dst, src0, src1=
   v_cmpx_eq_i16 \dst, \src0, \src1 
.endm

.macro _v_cmpx_eq_i32 dst, src0, src1=
   v_cmpx_eq_i32 \dst, \src0, \src1 
.endm

.macro _v_cmpx_eq_i64 dst, src0, src1=
   v_cmpx_eq_i64 \dst, \src0, \src1 
.endm

.macro _v_cmpx_eq_u16 dst, src0, src1=
   v_cmpx_eq_u16 \dst, \src0, \src1 
.endm

.macro _v_cmpx_eq_u32 dst, src0, src1=
   v_cmpx_eq_u32 \dst, \src0, \src1 
.endm

.macro _v_cmpx_eq_u64 dst, src0, src1=
   v_cmpx_eq_u64 \dst, \src0, \src1 
.endm

.macro _v_cmpx_le_i16 dst, src0, src1=
   v_cmpx_le_i16 \dst, \src0, \src1 
.endm

.macro _v_cmpx_le_i32 dst, src0, src1=
   v_cmpx_le_i32 \dst, \src0, \src1 
.endm

.macro _v_cmpx_le_i64 dst, src0, src1=
   v_cmpx_le_i64 \dst, \src0, \src1 
.endm

.macro _v_cmpx_le_u16 dst, src0, src1=
   v_cmpx_le_u16 \dst, \src0, \src1 
.endm

.macro _v_cmpx_le_u32 dst, src0, src1=
   v_cmpx_le_u32 \dst, \src0, \src1 
.endm

.macro _v_cmpx_le_u64 dst, src0, src1=
   v_cmpx_le_u64 \dst, \src0, \src1 
.endm

.macro _v_cmpx_gt_i16 dst, src0, src1=
   v_cmpx_gt_i16 \dst, \src0, \src1 
.endm

.macro _v_cmpx_gt_i32 dst, src0, src1=
   v_cmpx_gt_i32 \dst, \src0, \src1 
.endm

.macro _v_cmpx_gt_i64 dst, src0, src1=
   v_cmpx_gt_i64 \dst, \src0, \src1 
.endm

.macro _v_cmpx_gt_u16 dst, src0, src1=
   v_cmpx_gt_u16 \dst, \src0, \src1 
.endm

.macro _v_cmpx_gt_u32 dst, src0, src1=
   v_cmpx_gt_u32 \dst, \src0, \src1 
.endm

.macro _v_cmpx_gt_u64 dst, src0, src1=
   v_cmpx_gt_u64 \dst, \src0, \src1 
.endm

.macro _v_cmpx_ne_i16 dst, src0, src1=
   v_cmpx_ne_i16 \dst, \src0, \src1 
.endm

.macro _v_cmpx_ne_i32 dst, src0, src1=
   v_cmpx_ne_i32 \dst, \src0, \src1 
.endm

.macro _v_cmpx_ne_i64 dst, src0, src1=
   v_cmpx_ne_i64 \dst, \src0, \src1 
.endm

.macro _v_cmpx_ne_u16 dst, src0, src1=
   v_cmpx_ne_u16 \dst, \src0, \src1 
.endm

.macro _v_cmpx_ne_u32 dst, src0, src1=
   v_cmpx_ne_u32 \dst, \src0, \src1 
.endm

.macro _v_cmpx_ne_u64 dst, src0, src1=
   v_cmpx_ne_u64 \dst, \src0, \src1 
.endm

.macro _v_cmpx_lg_i16 dst, src0, src1=
   v_cmpx_lg_i16 \dst, \src0, \src1 
.endm

.macro _v_cmpx_lg_i32 dst, src0, src1=
   v_cmpx_lg_i32 \dst, \src0, \src1 
.endm

.macro _v_cmpx_lg_i64 dst, src0, src1=
   v_cmpx_lg_i64 \dst, \src0, \src1 
.endm

.macro _v_cmpx_lg_u16 dst, src0, src1=
   v_cmpx_lg_u16 \dst, \src0, \src1 
.endm

.macro _v_cmpx_lg_u32 dst, src0, src1=
   v_cmpx_lg_u32 \dst, \src0, \src1 
.endm

.macro _v_cmpx_lg_u64 dst, src0, src1=
   v_cmpx_lg_u64 \dst, \src0, \src1 
.endm

.macro _v_cmpx_ge_i16 dst, src0, src1=
   v_cmpx_ge_i16 \dst, \src0, \src1 
.endm

.macro _v_cmpx_ge_i32 dst, src0, src1=
   v_cmpx_ge_i32 \dst, \src0, \src1 
.endm

.macro _v_cmpx_ge_i64 dst, src0, src1=
   v_cmpx_ge_i64 \dst, \src0, \src1 
.endm

.macro _v_cmpx_ge_u16 dst, src0, src1=
   v_cmpx_ge_u16 \dst, \src0, \src1 
.endm

.macro _v_cmpx_ge_u32 dst, src0, src1=
   v_cmpx_ge_u32 \dst, \src0, \src1 
.endm

.macro _v_cmpx_ge_u64 dst, src0, src1=
   v_cmpx_ge_u64 \dst, \src0, \src1 
.endm

.macro _v_cmpx_o_i16 dst, src0, src1=
   v_cmpx_o_i16 \dst, \src0, \src1 
.endm

.macro _v_cmpx_o_i32 dst, src0, src1=
   v_cmpx_o_i32 \dst, \src0, \src1 
.endm

.macro _v_cmpx_o_i64 dst, src0, src1=
   v_cmpx_o_i64 \dst, \src0, \src1 
.endm

.macro _v_cmpx_o_u16 dst, src0, src1=
   v_cmpx_o_u16 \dst, \src0, \src1 
.endm

.macro _v_cmpx_o_u32 dst, src0, src1=
   v_cmpx_o_u32 \dst, \src0, \src1 
.endm

.macro _v_cmpx_o_u64 dst, src0, src1=
   v_cmpx_o_u64 \dst, \src0, \src1 
.endm

.macro _v_cmpx_u_i16 dst, src0, src1=
   v_cmpx_u_i16 \dst, \src0, \src1 
.endm

.macro _v_cmpx_u_i32 dst, src0, src1=
   v_cmpx_u_i32 \dst, \src0, \src1 
.endm

.macro _v_cmpx_u_i64 dst, src0, src1=
   v_cmpx_u_i64 \dst, \src0, \src1 
.endm

.macro _v_cmpx_u_u16 dst, src0, src1=
   v_cmpx_u_u16 \dst, \src0, \src1 
.endm

.macro _v_cmpx_u_u32 dst, src0, src1=
   v_cmpx_u_u32 \dst, \src0, \src1 
.endm

.macro _v_cmpx_u_u64 dst, src0, src1=
   v_cmpx_u_u64 \dst, \src0, \src1 
.endm
.macro _v_mac_f32 c:req, a:req, b:req
    v_fmac_f32 \c, \a, \b
.endmacro

/* scale global load macros */
.macro _s_load_b32 dst base offset
    s_load_dword \dst \base \offset
.endm

.macro _s_load_b64 dst base offset
    s_load_dwordx2 \dst \base \offset
.endm

.macro _s_load_b128 dst base offset
    s_load_dwordx4 \dst \base \offset
.endm

.macro _s_load_b256 dst base offset
    s_load_dwordx8 \dst \base \offset
.endm

.macro _s_load_b512 dst base offset
    s_load_dwordx16 \dst \base \offset
.endm


/* ds operation macros */
.macro _ds_load_u8 dst src offset
    ds_read_u8 \dst \src \offset
.endm

.macro _ds_load_u8_d16_hi dst src offset
    ds_read_u8_d16_hi \dst \src \offset
.endm

.macro _ds_load_u16 dst src offset
    ds_read_u16 \dst \src \offset
.endm

.macro _ds_load_u16_d16_hi dst src offset
    ds_read_u16_d16_hi \dst \src \offset
.endm

.macro _ds_load_b32 dst src offset
    ds_read_b32 \dst \src \offset
.endm

.macro _ds_load_b64 dst src offset
    ds_read_b64 \dst \src \offset
.endm

.macro _ds_load_b128 dst src offset
    ds_read_b128 \dst \src \offset
.endm

.macro _ds_store_b8 dst src offset
    ds_write_b8 \dst \src \offset
.endm

.macro _ds_store_b8_d16_hi dst src offset
    ds_write_b8_d16_hi \dst \src \offset
.endm

.macro _ds_store_b16 dst src offset
    ds_write_b16 \dst \src \offset
.endm

.macro _ds_store_b16_d16_hi dst src offset
    ds_write_b16_d16_hi \dst \src \offset
.endm

.macro _ds_store_b32 dst src offset
    ds_write_b32 \dst \src \offset
.endm

.macro _ds_store_b64 dst src offset
    ds_write_b64 \dst \src \offset
.endm

.macro _ds_store_b128 dst src offset
    ds_write_b128 \dst \src \offset
.endm

.macro _ds_load2_b32 dst src offset1 offset2
    ds_read2_b32 \dst \src \offset1 \offset2
.endm

.macro _ds_load2_b64 dst src offset1 offset2
    ds_read2_b64 \dst \src \offset1 \offset2
.endm

.macro _ds_store2_b32 dst src offset1 offset2
    ds_write2_b32 \dst \src \offset1 \offset2
.endm

.macro _ds_store2_b64 dst src offset1 offset2
    ds_write2_b64 \dst \src \offset1 \offset2
.endm


/* buffer memory operation macros */
.macro _buffer_load_b32 dst voffset base soffset offen ioffset md0 md1 md2
    buffer_load_dword \dst \voffset \base \soffset \offen \ioffset \md0 \md1 \md2
.endm

.macro _buffer_load_b64 dst voffset base soffset offen ioffset md0 md1 md2
    buffer_load_dwordx2 \dst \voffset \base \soffset \offen \ioffset \md0 \md1 \md2
.endm

.macro _buffer_load_b96 dst voffset base soffset offen ioffset md0 md1 md2
    buffer_load_dwordx3 \dst \voffset \base \soffset \offen \ioffset \md0 \md1 \md2
.endm

.macro _buffer_load_b128 dst voffset base soffset offen ioffset md0 md1 md2
    buffer_load_dwordx4 \dst \voffset \base \soffset \offen \ioffset \md0 \md1 \md2
.endm

.macro _buffer_load_d16_b16 dst voffset base soffset offen ioffset md0 md1 md2
    buffer_load_short_d16 \dst \voffset \base \soffset \offen \ioffset \md0 \md1 \md2
.endm

.macro _buffer_load_d16_hi_b16 dst voffset base soffset offen ioffset md0 md1 md2
    buffer_load_short_d16_hi \dst \voffset \base \soffset \offen \ioffset \md0 \md1 \md2
.endm

.macro _buffer_load_d16_u8 dst voffset base soffset offen ioffset md0 md1 md2
    buffer_load_ubyte_d16 \dst \voffset \base \soffset \offen \ioffset \md0 \md1 \md2
.endm

.macro _buffer_load_d16_hi_u8 dst voffset base soffset offen ioffset md0 md1 md2
    buffer_load_ubyte_d16_hi \dst \voffset \base \soffset \offen \ioffset \md0 \md1 \md2
.endm

.macro _buffer_load_u16 dst voffset base soffset offen ioffset md0 md1 md2
    buffer_load_ushort \dst \voffset \base \soffset \offen \ioffset \md0 \md1 \md2
.endm

.macro _buffer_load_b32_dtl voffset base soffset offen ioffset md0 md1 md2
    buffer_load_dword \voffset \base \soffset \offen \ioffset \md0 \md1 \md2
.endm

.macro _buffer_load_b64_dtl voffset base soffset offen ioffset md0 md1 md2
    buffer_load_dwordx2 \voffset \base \soffset \offen \ioffset \md0 \md1 \md2
.endm

.macro _buffer_load_b128_dtl voffset base soffset offen ioffset md0 md1 md2
    buffer_load_dwordx4 \voffset \base \soffset \offen \ioffset \md0 \md1 \md2
.endm

.macro _buffer_load_u16_dtl voffset base soffset offen ioffset md0 md1 md2
    buffer_load_ushort \voffset \base \soffset \offen \ioffset \md0 \md1 \md2
.endm

.macro _buffer_store_b32 src voffset base soffset offen ioffset md0 md1 md2
    buffer_store_dword \src \voffset \base \soffset \offen \ioffset \md0 \md1 \md2
.endm

.macro _buffer_store_b64 src voffset base soffset offen ioffset md0 md1 md2
    buffer_store_dwordx2 \src \voffset \base \soffset \offen \ioffset \md0 \md1 \md2
.endm

.macro _buffer_store_b96 src voffset base soffset offen ioffset md0 md1 md2
    buffer_store_dwordx3 \src \voffset \base \soffset \offen \ioffset \md0 \md1 \md2
.endm

.macro _buffer_store_b128 src voffset base soffset offen ioffset md0 md1 md2
    buffer_store_dwordx4 \src \voffset \base \soffset \offen \ioffset \md0 \md1 \md2
.endm

.macro _buffer_store_b16 src voffset base soffset offen ioffset md0 md1 md2
    buffer_store_short \src \voffset \base \soffset \offen \ioffset \md0 \md1 \md2
.endm

.macro _buffer_store_d16_hi_b16 src voffset base soffset offen ioffset md0 md1 md2
    buffer_store_short_d16_hi \src \voffset \base \soffset \offen \ioffset \md0 \md1 \md2
.endm

.macro _buffer_store_b8 src voffset base soffset offen ioffset md0 md1 md2
    buffer_store_byte \src \voffset \base \soffset \offen \ioffset \md0 \md1 \md2
.endm

.macro _buffer_store_d16_hi_b8 src voffset base soffset offen ioffset md0 md1 md2
    buffer_store_byte_d16_hi \src \voffset \base \soffset \offen \ioffset \md0 \md1 \md2
.endm

.macro _buffer_atomic_cmpswap_b32 dst voffset base soffset offen ioffset md0 md1 md2
    buffer_atomic_cmpswap \dst \voffset \base \soffset \offen \ioffset \md0 \md1 \md2
.endm

.macro _buffer_atomic_cmpswap_b64 dst voffset base soffset offen ioffset md0 md1 md2
    buffer_atomic_cmpswap_x2 \dst \voffset \base \soffset \offen \ioffset \md0 \md1 \md2
.endm


/* buffer memory operation macros */
.macro _global_load_b32 dst base src ioffset md0 md1 md2
    global_load_dword \dst \base \src \ioffset \md0 \md1 \md2
.endm

.macro _global_load_b64 dst base src ioffset md0 md1 md2
    global_load_dwordx2 \dst \base \src \ioffset \md0 \md1 \md2
.endm

.macro _global_load_b96 dst base src ioffset md0 md1 md2
    global_load_dwordx3 \dst \base \src \ioffset \md0 \md1 \md2
.endm

.macro _global_load_b128 dst base src ioffset md0 md1 md2
    global_load_dwordx4 \dst \base \src \ioffset \md0 \md1 \md2
.endm

.macro _global_load_d16_b16 dst base src ioffset md0 md1 md2
    global_load_short_d16 \dst \base \src \ioffset \md0 \md1 \md2
.endm

.macro _global_load_d16_hi_b16 dst base src ioffset md0 md1 md2
    global_load_short_d16_hi \dst \base \src \ioffset \md0 \md1 \md2
.endm

.macro _global_load_d16_u8 dst base src ioffset md0 md1 md2
    global_load_ubyte_d16 \dst \base \src \ioffset \md0 \md1 \md2
.endm

.macro _global_load_d16_hi_u8 dst base src ioffset md0 md1 md2
    global_load_ubyte_d16_hi \dst \base \src \ioffset \md0 \md1 \md2
.endm

.macro _global_load_u16 dst base src ioffset md0 md1 md2
    global_load_ushort \dst \base \src \ioffset \md0 \md1 \md2
.endm

.macro _global_store_b32 base src src2 md0 md1 md2
    global_store_dword \base \src \src2 \md0 \md1 \md2
.endm

.macro _global_store_b64 base src src2 md0 md1 md2
    global_store_dwordx2 \base \src \src2 \md0 \md1 \md2
.endm

.macro _global_store_b96 base src src2 md0 md1 md2
    global_store_dwordx3 \base \src \src2 \md0 \md1 \md2
.endm

.macro _global_store_b128 base src src2 md0 md1 md2
    global_store_dwordx4 \base \src \src2 \md0 \md1 \md2
.endm

.macro _global_store_d16_b16 base src src2 md0 md1 md2
    global_store_short \base \src \src2 \md0 \md1 \md2
.endm

.macro _global_store_d16_hi_b16 base src src2 md0 md1 md2
    global_store_short_d16_hi \base \src \src2 \md0 \md1 \md2
.endm

.macro _global_store_d16_u8 base src src2 md0 md1 md2
    global_store_ubyte_d16 \base \src \src2 \md0 \md1 \md2
.endm

.macro _global_store_d16_hi_u8 base src src2 md0 md1 md2
    global_store_ubyte_d16_hi \base \src \src2 \md0 \md1 \md2
.endm

.macro _global_store_u16 base src src2 md0 md1 md2
    global_store_ushort \base \src \src2 \md0 \md1 \md2
.endm

.macro _global_atomic_cmpswap_b32 tmp base data src ioffset md
    global_atomic_cmpswap \tmp \base \data \src \ioffset \md
.endm

.macro _global_atomic_cmpswap_b64 tmp base data src ioffset md
    global_atomic_cmpswap_x2 \tmp \base \data \src \ioffset \md
.endm


/******************************************/
/* Magic div and mod functions            */
/******************************************/
.macro V_MAGIC_DIV dstIdx:req, dividend:req, magicNumber:req, magicShift:req, magicA:req
    v_mul_hi_u32 v[\dstIdx+1], \dividend, \magicNumber
    v_mul_lo_u32 v[\dstIdx+0], \dividend, \magicA
    _v_add_u32 v[\dstIdx+0], v[\dstIdx+0], v[\dstIdx+1]
    v_lshrrev_b32 v[\dstIdx+0], \magicShift, v[\dstIdx+0]
.endm

/******************************************/
/* VGPR Assignments                       */
/******************************************/
/* ValuC range: [0-0), serializedStore enabled */
.set vgprValuC, 0
/* ValuA/B   Xn=PLR buffer idx,  In=InnerUnroll idx */
.set vgprValuA_X0_I0, 0
.set vgprValuA_X1_I0, 12
.set vgprG2LA, 44
.set vgprValuB_X0_I0, 24
.set vgprValuB_X1_I0, 32
.set vgprG2LB, 68
.set vgprLocalWriteAddrA, 40
.set vgprLocalWriteAddrB, 41
.set vgprGlobalReadOffsetA, 42
.set vgprGlobalReadOffsetB, 43
.set vgprLocalReadAddrA, 84
.set vgprLocalReadAddrB, 85
.set vgprSerial, 86
/* Num VGPR=256 */
/* Num AccVGPR=96 */

/******************************************/
/* SGPR Assignments                       */
/******************************************/
.set sgprKernArgAddress, 0 // (2)
.set sgprWorkGroup0, 2 // (1)
.set sgprWorkGroup1, 3 // (1)
.set sgprWorkGroup2, 4 // (1)
.set sgprLoopCounterL, 5 // (1)
.set sgprOrigLoopCounter, 6 // (1)
.set sgprSrdA, 8 // (4)
.set sgprSrdB, 12 // (4)
.set sgprSrdD, 16 // (4)
.set sgprSrdC, 20 // (4)
.set sgprTensor2dSizeA, 24 // (2)
.set sgprTensor2dSizeB, 26 // (2)
.set sgprAddressD, 28 // (2)
.set sgprAddressC, 30 // (2)
.set sgprAddressA, 32 // (2)
.set sgprAddressB, 34 // (2)
.set sgprAlpha, 36 // (4)
.set sgprBeta, 40 // (4)
.set sgprStridesD, 44 // (2)
.set sgprStridesC, 46 // (2)
.set sgprStridesA, 48 // (2)
.set sgprStridesB, 50 // (2)
.set sgprSizesFree, 52 // (3)
.set sgprSizesSum, 55 // (1)
.set sgprNumWorkGroups0, 56 // (1)
.set sgprNumWorkGroups1, 57 // (1)
.set sgprNumFullBlocks, 58 // (1)
.set sgprWgmRemainder1, 59 // (1)
.set sgprMagicNumberWgmRemainder1, 60 // (1)
.set sgprShadowLimitA, 0 // (2)
.set sgprShadowLimitB, 28 // (2)
.set sgprGlobalReadIncsA, 7 // (1)
.set sgprGlobalReadIncsB, 30 // (1)
.set sgprScalarGlobalReadOffsetA, 31 // (5)
.set sgprScalarGlobalReadOffsetB, 64 // (3)
/* max SGPR=72 */

/* Size Assignments */
.set sgprSizeI, sgprSizesFree+0
.set sgprSizeJ, sgprSizesFree+1
.set sgprSizeK, sgprSizesFree+2
.set sgprSizeL, sgprSizesSum+0

/* Stride Assignments */
.set constStrideD0I, 1
.set sgprStrideD1J, sgprStridesD+0
.set sgprStrideDK, sgprStridesD+1
.set constStrideC0I, 1
.set sgprStrideC1J, sgprStridesC+0
.set sgprStrideCK, sgprStridesC+1
.set constStrideAL, 1
.set sgprStrideA0I, sgprStridesA+0
.set sgprStrideAK, sgprStridesA+1
.set constStrideB1J, 1
.set sgprStrideBL, sgprStridesB+0
.set sgprStrideBK, sgprStridesB+1

.set MT0, 96
.set MT1, 64
.set DepthU, 16
.set GSU, 1
.set BpeA, 16
.set BpeALog2, 4
.set BpeB, 16
.set BpeBLog2, 4
/* Number of elements to shift-left SRD */
.set SrdShiftLeftA, 1
.set SrdShiftLeftB, 1
/* 2GB limit - set offsets to -1 to exceed this and clamp */
.set BufferLimitA, 0xffffffff
.set BufferLimitB, 0xffffffff
.set BufferOOB, 0xfffff000

/******************************************/
/* Bits 127:96 of SRD.                    */
/* hex: 0x00020000                        */
/* dst_sel_x (3b): 0                      */
/* dst_sel_y (3b): 0                      */
/* dst_sel_z (3b): 0                      */
/* dst_sel_w (3b): 0                      */
/* num_format (3b): 0                     */
/* data_format (4b): 4                    */
/* user_vm_enable (1b): 0                 */
/* user_vm_mode (1b): 0                   */
/* index_stride (2b): 0                   */
/* add_tid_enable (1b): 0                 */
/* _unusedA (3b): 0                       */
/* nv (1b): 0                             */
/* _unusedB (2b): 0                       */
/* type (2b): 0                           */
/******************************************/
.set Srd127_96, 0x00020000

/* Global Offset A */
.macro GLOBAL_OFFSET_A vgprAddr:req vgprOffsetL:req vgprOffset0I:req vgprTmp:req
v_mul_lo_u32 v[\vgprTmp+0], s[sgprStrideA0I], v[\vgprOffset0I] // mul d1 lower
_v_add_co_u32 v[\vgprAddr+0], vcc, v[\vgprOffsetL], v[\vgprTmp+0] // accumulate K lower
_v_add_u32 v[\vgprAddr+0], 0x1, v[\vgprAddr+0]     // add prepad for pointer shift
v_lshlrev_b32 v[\vgprAddr+0], 0x4, v[\vgprAddr+0]  // offset *= bytes/element
.endm

/* Global Offset B */
.macro GLOBAL_OFFSET_B vgprAddr:req vgprOffset1J:req vgprOffsetL:req vgprTmp:req
v_mul_lo_u32 v[\vgprTmp+0], s[sgprStrideBL], v[\vgprOffsetL] // mul d1 lower
_v_add_co_u32 v[\vgprAddr+0], vcc, v[\vgprOffset1J], v[\vgprTmp+0] // accumulate K lower
_v_add_u32 v[\vgprAddr+0], 0x1, v[\vgprAddr+0]     // add prepad for pointer shift
v_lshlrev_b32 v[\vgprAddr+0], 0x4, v[\vgprAddr+0]  // offset *= bytes/element
.endm

/******************************************/
/* Dynamic Scalar Divide: vQuotient=vDividend/vDivisor; vRemainder=vDividend%vDivisor; */
/******************************************/
.macro DYNAMIC_VECTOR_DIVIDE vQuotient vRemainder vDividend vDivisor vTmp0 vTmp1 sTmp
v_cvt_f32_u32 v[\vQuotient], v[\vDivisor]          // 
v_rcp_f32 v[\vQuotient], v[\vQuotient]             // 
v_mul_f32 v[\vQuotient], 0x4f800000, v[\vQuotient] // 
v_cvt_u32_f32 v[\vQuotient], v[\vQuotient]         // 
v_mul_lo_u32 v[\vRemainder], v[\vDivisor], v[\vQuotient] // 
v_mul_hi_u32 v[\vTmp0], v[\vDivisor], v[\vQuotient] // 
_v_sub_co_u32 v[\vTmp1], vcc, 0x0, v[\vRemainder]  // 
v_cmp_ne_i32 s[\sTmp:\sTmp+1], 0x0, v[\vTmp0]      // 
v_cndmask_b32 v[\vRemainder], v[\vTmp1], v[\vRemainder], s[\sTmp:\sTmp+1] // 
v_mul_hi_u32 v[\vRemainder], v[\vRemainder], v[\vQuotient] // 
_v_sub_co_u32 v[\vTmp0], vcc, v[\vQuotient], v[\vRemainder] // 
_v_add_co_u32 v[\vQuotient], vcc, v[\vQuotient], v[\vRemainder] // 
v_cndmask_b32 v[\vQuotient], v[\vQuotient], v[\vTmp0], s[\sTmp:\sTmp+1] // 
v_mul_hi_u32 v[\vQuotient], v[\vQuotient], v[\vDividend] // 
v_mul_lo_u32 v[\vRemainder], v[\vQuotient], v[\vDivisor] // 
_v_sub_co_u32 v[\vTmp0], vcc, v[\vDividend], v[\vRemainder] // 
v_cmp_ge_u32 s[\sTmp:\sTmp+1], v[\vDividend], v[\vRemainder] // 
_v_add_co_u32 v[\vRemainder], vcc, 0x1, v[\vQuotient] // 
_v_add_co_u32 v[\vTmp1], vcc, -1, v[\vQuotient]    // 
v_cmp_le_u32 vcc, v[\vDivisor], v[\vTmp0]          // 
s_and_b64 vcc, s[\sTmp:\sTmp+1], vcc               // 
v_cndmask_b32 v[\vQuotient], v[\vQuotient], v[\vRemainder], vcc // 
v_cndmask_b32 v[\vQuotient], v[\vTmp1], v[\vQuotient], s[\sTmp:\sTmp+1] // 
v_cmp_ne_i32 vcc, 0x0, v[\vDivisor]                // 
v_cndmask_b32 v[\vQuotient], -1, v[\vQuotient], vcc // final result
v_mul_lo_u32 v[\vRemainder], v[\vQuotient], v[\vDivisor] // 
_v_sub_co_u32 v[\vRemainder], vcc, v[\vDividend], v[\vRemainder] // final result
.endm



/******************************************/
/* Allocate Resources                     */
/******************************************/

Cijk_AlikC_BjlkC_ZB_MT96x64x16_MI16x16x4x1_SN_1LDSB1_APM1_ABV0_ACED0_AF0EM1_AF1EM1_AMAS0_ASE_ASGT332_ASLT_ASEM1_AAC0_BL1_BS1_CLR0_DTVA0_DVO0_ETSP_EPS1_EMLL0_FL0_GLVWA1_GLVWB1_GRPM1_GRVW1_GSU1_GSUASB_GLS0_ISA90a_IU1_K1_KLA_LBSPPA256_LBSPPB0_LPA4_LPB0_LDL1_LRVW1_LWPMn1_LDW0_FMA_MIAV0_MO40_MMFGLC_NTA0_NTB0_NTC3_NTD3_NEPBS0_NLCA1_NLCB1_ONLL1_OPLV0_PK0_PAP0_PGR2_PLR1_SIA3_SS1_SU0_SUM0_SUS0_SCIUI1_SPO1_SRVW0_SSO4_SVW1_SNLL0_TSGRA0_TSGRB0_TT3_32_TLDS1_UMLDSA1_UMLDSB0_USFGROn1_VAW1_VSn1_VW1_VWB1_VFLRP0_WSGRA0_WSGRB0_WG32_8_1_WGM7_preloaded: // Kernel start when preloading
s_setprio 3                                        // optimization store

/* Load Kernel Args */
_s_load_b512 s[24:39], s[sgprKernArgAddress:sgprKernArgAddress+1], 0x0 // 
_s_load_b512 s[40:55], s[sgprKernArgAddress:sgprKernArgAddress+1], 0x40 // 
_s_load_b128 s[56:59], s[sgprKernArgAddress:sgprKernArgAddress+1], 0x80 // 
_s_load_b32 s60, s[sgprKernArgAddress:sgprKernArgAddress+1], 0x90 // 
s_mov_b32 m0, 0xb800                               // LDS clamp at 47104 bytes
v_mov_b32 v[vgprSerial], v0                        // thread serial id

/******************************************/
/* Local Read Addresses                   */
/******************************************/


/* local read addresses: tile assignments a/b */

/*lr0I*/
v_and_b32 v1, 63, v[vgprSerial]                    // 0. thread id in wave: wtid = tid % wavelength(64)
v_and_b32 v0, 15, v1                               // 1. N offset: nIdx = wtid % MI_N(16)
v_lshlrev_b32 v0, 0x4, v0                          // 1. N offset: nOffset = nIdx * nStride(16)
                                                   // 2. block offset: bnIdx = bnIdx % num1DBlocks(1) is 0. do nothing
                                                   // 4. apply VectorWidth: bnOffset = bnOffset * vw(1) (multiplier is 1, do nothing)
v_lshrrev_b32 v1, 4, v1                            // 5. K offset: kIdx = wtid / (MIN(16) * MIBB(1))
                                                   // 5. K offset: lrKOffset = kIdx * mStride(1) (multiplier is 1, do nothing)
_v_add_u32 v0, v1, v0                              // 6. offset in wave: lrOffset = bnOffset + lrKOffset
v_lshrrev_b32 v2, 6, v[vgprSerial]                 // 7. wave offset in N dimen: wtid = tid / dividedForWaveId(64)
v_and_b32 v1, 1, v2                                // 7. wave offset in M dimen: wtid0 = wtid / num1DWaves(2)
v_lshlrev_b32 v1, 0x8, v1                          // 7. wave offset in M dimen: wOffset = wtid0 * W0Stride(256)
_v_add_u32 v0, v1, v0                              // 8. final local read offset: flrOffset = lrOffset + WOffset
/*lr1J*/
v_and_b32 v2, 63, v[vgprSerial]                    // 0. thread id in wave: wtid = tid % wavelength(64)
v_and_b32 v1, 15, v2                               // 1. N offset: nIdx = wtid % MI_N(16)
                                                   // 1. N offset: nOffset = nIdx * nStride(1) (multiplier is 1, do nothing)
                                                   // 2. block offset: bnIdx = bnIdx % num1DBlocks(1) is 0. do nothing
                                                   // 4. apply VectorWidth: bnOffset = bnOffset * vw(1) (multiplier is 1, do nothing)
v_lshrrev_b32 v2, 4, v2                            // 5. K offset: kIdx = wtid / (MIN(16) * MIBB(1))
v_lshlrev_b32 v2, 0x6, v2                          // 5. K offset: lrKOffset = kIdx * mStride(64)
_v_add_u32 v1, v2, v1                              // 6. offset in wave: lrOffset = bnOffset + lrKOffset
v_lshrrev_b32 v3, 7, v[vgprSerial]                 // 7. wave offset in N dimen: wtid = tid / dividedForWaveId(128)
v_and_b32 v2, 1, v3                                // 7. wave offset in M dimen: wtid0 = wtid / num1DWaves(2)
v_lshlrev_b32 v2, 0x4, v2                          // 7. wave offset in M dimen: wOffset = wtid0 * W0Stride(16)
_v_add_u32 v1, v2, v1                              // 8. final local read offset: flrOffset = lrOffset + WOffset


/* local read addresses: final offsets a */

v_lshlrev_b32 v[vgprLocalReadAddrA], 0x4, v0       // Final Offset: offset = (lro0)*bpe
v_lshrrev_b32 v0, 8, v[vgprLocalReadAddrA]         // Final Offset: padding 4 per block 256
v_lshlrev_b32 v0, 0x6, v0                          // Final Offset: padding 4 per block 256
_v_add_u32 v[vgprLocalReadAddrA], v0, v[vgprLocalReadAddrA] // Final Offset: add padding 4 per block 256


/* local read addresses: final offsets b */

v_lshlrev_b32 v[vgprLocalReadAddrB], 0x4, v1       // Final Offset: offset = (lro1)*bpe


/* local read addresses: declare addresses a */

/* N/A */


/* local read addresses: declare addresses b */

_v_add_co_u32 v[vgprLocalReadAddrB+0], vcc, 0x7800, v[vgprLocalReadAddrB+0] //  += LdsOffsetB (lower)


/* global read addresses: tile offset assignment a */

/* LVCA = 16 */
/* v0 = (local)groA-tile = serial/LVCA (note (wgA*MTA) will be added to SRD) */
/* v1 = groA-unroll = serial%LVCA */
v_lshrrev_b32 v0, 4, v[vgprSerial]                 // v0 = v[vgprSerial] / 16
v_and_b32 v1, 15, v[vgprSerial]                    // v1 = v[vgprSerial] % 16
/* gro-unroll *= glvw */
                                                   // v1 = v1 * 1 (multiplier is 1, do nothing)


/* global read addresses: tile offset assignment b */

/* LVCB = 64 */
/* v2 = (local)groB-tile = serial%LVCB (note (wgB*MTB) will be added to SRD) */
/* v3 = groB-unroll = serial/LVCB */
v_lshrrev_b32 v3, 6, v[vgprSerial]                 // v3 = v[vgprSerial] / 64
v_and_b32 v2, 63, v[vgprSerial]                    // v2 = v[vgprSerial] % 64
/* gro-tile *= glvw */
                                                   // v2 = v2 * 1 (multiplier is 1, do nothing)


/******************************************/
/* Local Write Addresses                  */
/******************************************/

/* lwaTileAssignmentA = v0 */

/* lwaTileAssignmentB = v2 */

/* lwaUnrollAssignmentA = v1 */

/* lwaUnrollAssignmentB = v3 */


/* local write addresses: first offset a */

v_mul_u32_u24 v[vgprLocalWriteAddrA], 0x10, v0     // lwAL**(DepthU_Compute + PAD)
_v_add_lshl_u32 v[vgprLocalWriteAddrA], v1, v[vgprLocalWriteAddrA], 0x4 // lwFOA = (lwAA + lwAL*(DepthU+PAD))*bpe
v_lshrrev_b32 v4, 8, v[vgprLocalWriteAddrA]        // padding 4 per block 256
v_lshlrev_b32 v4, 0x6, v4                          // padding 4 per block 256
_v_add_u32 v[vgprLocalWriteAddrA], v4, v[vgprLocalWriteAddrA] // add padding 4 per block 256


/* local write addresses: first offset b */

v_mul_u32_u24 v[vgprLocalWriteAddrB], 0x40, v3     // lwBL**(MTB + PAD)
_v_add_lshl_u32 v[vgprLocalWriteAddrB], v2, v[vgprLocalWriteAddrB], 0x4 // lwFOB = (lwBB + lwBL*(MT1J+PAD))*bpe
_v_add_co_u32 v[vgprLocalWriteAddrB], vcc, 0x7800, v[vgprLocalWriteAddrB] // lwFOB = lwB1J + lwBL*MT1J + LDS_OFFSET_B=1920*16


	;; [unrolled: 1-line block ×7, first 2 shown]
s_waitcnt lgkmcnt(0)                               // wait for 148 bytes of kern args
s_mov_b64 s[sgprSrdC+0:sgprSrdC+0+1], s[sgprAddressC+0:sgprAddressC+0+1] // copy addressC
s_mov_b64 s[sgprSrdD+0:sgprSrdD+0+1], s[sgprAddressD+0:sgprAddressD+0+1] // copy addressD
s_sub_u32 s[sgprSrdA+0], s[sgprAddressA+0], 16     // pre-pad to make room for possible pointer shift
s_subb_u32 s[sgprSrdA+1], s[sgprAddressA+1], 0     // pre-pad to make room for possible pointer shift
s_sub_u32 s[sgprSrdB+0], s[sgprAddressB+0], 16     // pre-pad to make room for possible pointer shift
s_subb_u32 s[sgprSrdB+1], s[sgprAddressB+1], 0     // pre-pad to make room for possible pointer shift

.set AddressD, UNDEF
.set AddressC, UNDEF
.set AddressA, UNDEF
.set AddressB, UNDEF

/* Short circuit condition if Alpha == 0, then sumDims=0 */
v_cmp_eq_f64 vcc, s[sgprAlpha:sgprAlpha+1], 0.0    // Alpha.real == 0.0 ?
s_cbranch_vccz label_AlphaNonZero                  // branch if Alpha.real != 0
v_cmp_eq_f64 vcc, s[sgprAlpha+2:sgprAlpha+2+1], 0.0 // Alpha.imag == 0.0 ?
s_cbranch_vccz label_AlphaNonZero                  // branch if Alpha.imag != 0
s_mov_b32 s[sgprSizesSum+0], 0x0                   // Set summation dim=0 if Alpha == 0
label_AlphaNonZero:


	;; [unrolled: 1-line block ×3, first 2 shown]
/******************************************/
/* Begin setupNewTile, isPap=False           */
/******************************************/


/* global read addresses: work-group */

/* graWorkGroup mapping */
s_mov_b32 s71, 0x12492493L                         // magic number for WGM==7
s_mul_hi_u32 s69, s[sgprWorkGroup1], s71           // s_magic mul
s_mul_i32 s68, s[sgprWorkGroup1], s71              // s_magic mul
s_lshr_b64 s[68:69], s[68:69], 31                  // sMagicDiv
s_mul_i32 s69, s68, 7                              // quotient * non-magic divisor
s_sub_u32 s69, s[sgprWorkGroup1], s69              // WorkGroup1=remainder
s_mul_i32 s69, s69, s[sgprNumWorkGroups0]          // (wg1 % WGM)*nwg0
s_add_u32 s69, s69, s[sgprWorkGroup0]              // wgSerial = wg0 + (wg1 % WGM)*nwg1
s_cmp_ge_u32 s68, s[sgprNumFullBlocks]             // blockId >= numFullBlocks ?
s_cmov_b32 s71, s[sgprMagicNumberWgmRemainder1]    // 
s_cselect_b32 s70, s[sgprWgmRemainder1], 7         // 
s_mul_hi_u32 s3, s69, s71                          // s_magic mul
s_mul_i32 s2, s69, s71                             // s_magic mul
s_lshr_b64 s[2:3], s[2:3], 31                      // sMagicDiv
s_mul_i32 s[sgprWorkGroup1], s[sgprWorkGroup0], s70 // quotient * non-magic divisor
s_sub_u32 s[sgprWorkGroup1], s69, s[sgprWorkGroup1] // WorkGroup1=remainder
s_mul_i32 s68, s68, 7                              // blockId * WGM
s_add_u32 s[sgprWorkGroup1], s[sgprWorkGroup1], s68 // wg1 += blockId * WGM


/* global read addresses: unroll assignment a */

/* v1 */


/* global read addresses: unroll assignment b */

/* v3 */


/* global read addresses: other free assignments */

/* s[sgprWorkGroup2] */


/* global read addresses: tile offsets a */


	;; [unrolled: 1-line block ×3, first 2 shown]
/* global read addresses: tile offsets b */


	;; [unrolled: 1-line block ×3, first 2 shown]
/* global read addresses: unroll offsets a */



/* global read addresses: unroll offsets b */


	;; [unrolled: 1-line block ×3, first 2 shown]
/* global read addresses: final offsets a */

GLOBAL_OFFSET_A vgprGlobalReadOffsetA+0,  1,  0, 4 // gROA_0_0_0_0
s_mul_i32 s[sgprScalarGlobalReadOffsetA+0], s[sgprStrideA0I], 16 // compute offset diff (scaled tileDim)
s_lshl_b32 s[sgprScalarGlobalReadOffsetA+0], s[sgprScalarGlobalReadOffsetA+0], 0x4 // scalar offset *= bytes/element
s_mul_i32 s[sgprScalarGlobalReadOffsetA+1], s[sgprStrideA0I], 32 // compute offset diff (scaled tileDim)
s_lshl_b32 s[sgprScalarGlobalReadOffsetA+1], s[sgprScalarGlobalReadOffsetA+1], 0x4 // scalar offset *= bytes/element
s_mul_i32 s[sgprScalarGlobalReadOffsetA+2], s[sgprStrideA0I], 48 // compute offset diff (scaled tileDim)
s_lshl_b32 s[sgprScalarGlobalReadOffsetA+2], s[sgprScalarGlobalReadOffsetA+2], 0x4 // scalar offset *= bytes/element
s_mul_i32 s[sgprScalarGlobalReadOffsetA+3], s[sgprStrideA0I], 64 // compute offset diff (scaled tileDim)
s_lshl_b32 s[sgprScalarGlobalReadOffsetA+3], s[sgprScalarGlobalReadOffsetA+3], 0x4 // scalar offset *= bytes/element
s_mul_i32 s[sgprScalarGlobalReadOffsetA+4], s[sgprStrideA0I], 80 // compute offset diff (scaled tileDim)
s_lshl_b32 s[sgprScalarGlobalReadOffsetA+4], s[sgprScalarGlobalReadOffsetA+4], 0x4 // scalar offset *= bytes/element


/* global read addresses: final offsets b */

GLOBAL_OFFSET_B vgprGlobalReadOffsetB+0,  2,  3, 4 // gROB_0_0_0_0
s_mul_i32 s[sgprScalarGlobalReadOffsetB+0], s[sgprStrideBL], 4 // compute offset diff (scaled unrollDim)
s_lshl_b32 s[sgprScalarGlobalReadOffsetB+0], s[sgprScalarGlobalReadOffsetB+0], 0x4 // scalar offset *= bytes/element
s_mul_i32 s[sgprScalarGlobalReadOffsetB+1], s[sgprStrideBL], 8 // compute offset diff (scaled unrollDim)
s_lshl_b32 s[sgprScalarGlobalReadOffsetB+1], s[sgprScalarGlobalReadOffsetB+1], 0x4 // scalar offset *= bytes/element
	;; [unrolled: 2-line block ×3, first 2 shown]


/* global read addresses: addresses a */

/* max read offset = size[n] * stride[n-1] */
s_mul_hi_u32 s71, s[sgprWorkGroup0], 96            // WorkGroup[01] * MT
s_mul_i32 s70, s[sgprWorkGroup0], 96               // WorkGroup[01] * MT
s_mul_hi_u32 s71, s70, s[sgprStrideA0I]            // tlu=0, scaled tile-offset by stride
s_mul_i32 s70, s70, s[sgprStrideA0I]               // tlu=0, scaled tile-offset by stride
s_sub_u32 s[sgprShadowLimitA+0], s[sgprTensor2dSizeA], s70 // sub tileStart
s_subb_u32 s[sgprShadowLimitA+1], s[sgprTensor2dSizeA+1], s71 // sub tileStart
s_lshl_b64 s[sgprShadowLimitA:sgprShadowLimitA+1], s[sgprShadowLimitA:sgprShadowLimitA+1], 0x4 // Set limit to use bytes
s_add_u32 s[sgprShadowLimitA+0], s[sgprShadowLimitA+0], 16 // extend limit for pre-pad
s_addc_u32 s[sgprShadowLimitA+1], s[sgprShadowLimitA+1], 0 // extend limit for pre-pad
s_cmp_eq_u32 s[sgprShadowLimitA+1], 0              // are we within 2^32?
s_cselect_b32 s[sgprSrdA+2], s[sgprShadowLimitA+0], BufferLimitA // Move shadow to real if we are within 2^32
s_mul_hi_u32 s69, s[sgprStrideAK], s[sgprWorkGroup2] // Stride*WG
s_mul_i32 s68, s[sgprStrideAK], s[sgprWorkGroup2]  // Stride*WG
s_add_u32 s70, s70, s68                            // accum wg term to tilestart
s_addc_u32 s71, s71, s69                           // accum wg term to tilestart
s_lshl_b64 s[70:71], s[70:71], 0x4                 // tileStart *= BPE
s_add_u32 s[sgprSrdA+0], s[sgprSrdA+0], s70        // SRD base = Address+ tileStart0
s_addc_u32 s[sgprSrdA+1], s[sgprSrdA+1], s71       // SRD base = Address+ tileStart1
s_mov_b32 s[sgprSrdA+3], Srd127_96                 // Set bits 127_96 in SRD


/* global read addresses: addresses b */

/* max read offset = size[n] * stride[n-1] */
s_mul_hi_u32 s71, s[sgprWorkGroup1], 64            // WorkGroup[01] * MT
s_mul_i32 s70, s[sgprWorkGroup1], 64               // WorkGroup[01] * MT
s_sub_u32 s[sgprShadowLimitB+0], s[sgprTensor2dSizeB], s70 // sub tileStart
s_subb_u32 s[sgprShadowLimitB+1], s[sgprTensor2dSizeB+1], s71 // sub tileStart
s_lshl_b64 s[sgprShadowLimitB:sgprShadowLimitB+1], s[sgprShadowLimitB:sgprShadowLimitB+1], 0x4 // Set limit to use bytes
s_add_u32 s[sgprShadowLimitB+0], s[sgprShadowLimitB+0], 16 // extend limit for pre-pad
s_addc_u32 s[sgprShadowLimitB+1], s[sgprShadowLimitB+1], 0 // extend limit for pre-pad
s_cmp_eq_u32 s[sgprShadowLimitB+1], 0              // are we within 2^32?
s_cselect_b32 s[sgprSrdB+2], s[sgprShadowLimitB+0], BufferLimitB // Move shadow to real if we are within 2^32
s_mul_hi_u32 s69, s[sgprStrideBK], s[sgprWorkGroup2] // Stride*WG
s_mul_i32 s68, s[sgprStrideBK], s[sgprWorkGroup2]  // Stride*WG
s_add_u32 s70, s70, s68                            // accum wg term to tilestart
s_addc_u32 s71, s71, s69                           // accum wg term to tilestart
s_lshl_b64 s[70:71], s[70:71], 0x4                 // tileStart *= BPE
s_add_u32 s[sgprSrdB+0], s[sgprSrdB+0], s70        // SRD base = Address+ tileStart0
s_addc_u32 s[sgprSrdB+1], s[sgprSrdB+1], s71       // SRD base = Address+ tileStart1
s_mov_b32 s[sgprSrdB+3], Srd127_96                 // Set bits 127_96 in SRD


/* global read addresses: increments a */

s_mov_b32 s[sgprGlobalReadIncsA+0], DepthU*BpeA    // incrA (unrollIdx)


/* global read addresses: increments b */

s_mul_i32 s[sgprGlobalReadIncsB+0], DepthU*BpeB, s[sgprStrideBL] // incrB unrollIdx)

/* declare loop num iterations */


s_add_i32 s[sgprLoopCounterL], 15, s[sgprSizesSum+0] // round up SizeSum / DepthU
s_lshr_b32 s[sgprLoopCounterL], s[sgprLoopCounterL], 4 // s[sgprLoopCounterL] = s[sgprLoopCounterL] / 16
s_mov_b32 s[sgprOrigLoopCounter], s[sgprLoopCounterL] // copy loop counter

/* local read addresses: init pointers a */


/* localReadInitPointers */

/* local read addresses: init pointers b */


/* localReadInitPointers */


/* prefetch: global -> local */

s_cmp_eq_u32 s[sgprLoopCounterL], 0                // at last iteration?
s_setprio 0                                        // optimization store
s_cbranch_scc1 ShadowInitStart_10                  // skip to ShadowInitStart iter b/c numIter==0


_buffer_load_b128 v[vgprG2LA+0:vgprG2LA+0+3], v[vgprGlobalReadOffsetA+0], s[sgprSrdA:sgprSrdA+3], 0, offen offset:0 // G -> Reg 0_0_0_0
_buffer_load_b128 v[vgprG2LA+4:vgprG2LA+4+3], v[vgprGlobalReadOffsetA+0], s[sgprSrdA:sgprSrdA+3], s[sgprScalarGlobalReadOffsetA+0], offen offset:0 // G -> Reg 0_0_1_0
_buffer_load_b128 v[vgprG2LA+8:vgprG2LA+8+3], v[vgprGlobalReadOffsetA+0], s[sgprSrdA:sgprSrdA+3], s[sgprScalarGlobalReadOffsetA+1], offen offset:0 // G -> Reg 0_0_2_0
_buffer_load_b128 v[vgprG2LA+12:vgprG2LA+12+3], v[vgprGlobalReadOffsetA+0], s[sgprSrdA:sgprSrdA+3], s[sgprScalarGlobalReadOffsetA+2], offen offset:0 // G -> Reg 0_0_3_0
_buffer_load_b128 v[vgprG2LA+16:vgprG2LA+16+3], v[vgprGlobalReadOffsetA+0], s[sgprSrdA:sgprSrdA+3], s[sgprScalarGlobalReadOffsetA+3], offen offset:0 // G -> Reg 0_0_4_0
_buffer_load_b128 v[vgprG2LA+20:vgprG2LA+20+3], v[vgprGlobalReadOffsetA+0], s[sgprSrdA:sgprSrdA+3], s[sgprScalarGlobalReadOffsetA+4], offen offset:0 // G -> Reg 0_0_5_0


_buffer_load_b128 v[vgprG2LB+0:vgprG2LB+0+3], v[vgprGlobalReadOffsetB+0], s[sgprSrdB:sgprSrdB+3], 0, offen offset:0 // G -> Reg 0_0_0_0
_buffer_load_b128 v[vgprG2LB+4:vgprG2LB+4+3], v[vgprGlobalReadOffsetB+0], s[sgprSrdB:sgprSrdB+3], s[sgprScalarGlobalReadOffsetB+0], offen offset:0 // G -> Reg 0_0_1_0
_buffer_load_b128 v[vgprG2LB+8:vgprG2LB+8+3], v[vgprGlobalReadOffsetB+0], s[sgprSrdB:sgprSrdB+3], s[sgprScalarGlobalReadOffsetB+1], offen offset:0 // G -> Reg 0_0_2_0
_buffer_load_b128 v[vgprG2LB+12:vgprG2LB+12+3], v[vgprGlobalReadOffsetB+0], s[sgprSrdB:sgprSrdB+3], s[sgprScalarGlobalReadOffsetB+2], offen offset:0 // G -> Reg 0_0_3_0


/* global read inc A loopL */
s_add_u32 s[sgprSrdA+0], s[sgprSrdA+0], s[sgprGlobalReadIncsA+0] // gra SRD += inc(lower)
s_addc_u32  s[sgprSrdA+1], s[sgprSrdA+1], 0        // gra SRD += inc(upper)
s_sub_u32 s[sgprShadowLimitA+0], s[sgprShadowLimitA+0], s[sgprGlobalReadIncsA+0] // limit -= inc)
s_subb_u32 s[sgprShadowLimitA+1], s[sgprShadowLimitA+1], 0 // limit -= inc)
s_cmp_eq_u32 s[sgprShadowLimitA+1], 0              // are we within 2^32?
s_cmov_b32 s[sgprSrdA+2], s[sgprShadowLimitA+0]    // Move shadow to real if we are within 2^32

/* global read inc B loopL */
s_add_u32 s[sgprSrdB+0], s[sgprSrdB+0], s[sgprGlobalReadIncsB+0] // gra SRD += inc(lower)
s_addc_u32  s[sgprSrdB+1], s[sgprSrdB+1], 0        // gra SRD += inc(upper)
s_sub_u32 s[sgprShadowLimitB+0], s[sgprShadowLimitB+0], s[sgprGlobalReadIncsB+0] // limit -= inc)
s_subb_u32 s[sgprShadowLimitB+1], s[sgprShadowLimitB+1], 0 // limit -= inc)
s_cmp_eq_u32 s[sgprShadowLimitB+1], 0              // are we within 2^32?
s_cmov_b32 s[sgprSrdB+2], s[sgprShadowLimitB+0]    // Move shadow to real if we are within 2^32


/******************************************/
/* End setupNewTile, isPap=False             */
/******************************************/

ShadowInitStart_10: // 

s_mov_b32 s[sgprSrdD+2], BufferOOB                 // 
s_mov_b32 s[sgprSrdD+3], Srd127_96                 // Set bits 127_96 in post-loop SRD

s_mov_b32 s[sgprSrdC+2], BufferOOB                 // 
s_mov_b32 s[sgprSrdC+3], Srd127_96                 // Set bits 127_96 in post-loop SRD


s_mul_i32 s70, MT1, s[sgprWorkGroup1]              // <- wg1*MT1
s_mul_hi_u32 s69, s70, s[sgprStrideC1J]            // CScale s70 by Stride
s_mul_i32 s68, s70, s[sgprStrideC1J]               // CScale s70 by Stride
s_lshl_b64 s[68:69], s[68:69], 4                   // scale by bpe
s_add_u32 s[sgprSrdC+0], s[sgprSrdC+0], s68        // add lo to SRD
s_addc_u32 s[sgprSrdC+1], s[sgprSrdC+1], s69       // add hi to SRD
s_mul_hi_u32 s69, s70, s[sgprStrideD1J]            // Scale s70 by Stride
s_mul_i32 s68, s70, s[sgprStrideD1J]               // Scale s70 by Stride
s_lshl_b64 s[68:69], s[68:69], 4                   // scale by bpe
s_add_u32 s[sgprSrdD+0], s[sgprSrdD+0], s68        // add lo to SRD
s_addc_u32 s[sgprSrdD+1], s[sgprSrdD+1], s69       // add hi to SRD

s_mul_hi_u32 s69, s[sgprWorkGroup2], s[sgprStrideCK] // CScale s[sgprWorkGroup2] by Stride
s_mul_i32 s68, s[sgprWorkGroup2], s[sgprStrideCK]  // CScale s[sgprWorkGroup2] by Stride
s_lshl_b64 s[68:69], s[68:69], 4                   // scale by bpe
s_add_u32 s[sgprSrdC+0], s[sgprSrdC+0], s68        // add lo to SRD
s_addc_u32 s[sgprSrdC+1], s[sgprSrdC+1], s69       // add hi to SRD
s_mul_hi_u32 s69, s[sgprWorkGroup2], s[sgprStrideDK] // Scale s[sgprWorkGroup2] by Stride
s_mul_i32 s68, s[sgprWorkGroup2], s[sgprStrideDK]  // Scale s[sgprWorkGroup2] by Stride
s_lshl_b64 s[68:69], s[68:69], 4                   // scale by bpe
s_add_u32 s[sgprSrdD+0], s[sgprSrdD+0], s68        // add lo to SRD
s_addc_u32 s[sgprSrdD+1], s[sgprSrdD+1], s69       // add hi to SRD


	;; [unrolled: 1-line block ×3, first 2 shown]
/* initC: remove C-tile 0-0 from pool */

/* initC: remove AB-tile 0-40 from pool */
v_accvgpr_write acc0, 0x0                          // initC
v_accvgpr_write acc1, 0x0                          // initC
v_accvgpr_write acc2, 0x0                          // initC
v_accvgpr_write acc3, 0x0                          // initC
v_accvgpr_write acc4, 0x0                          // initC
v_accvgpr_write acc5, 0x0                          // initC
v_accvgpr_write acc6, 0x0                          // initC
v_accvgpr_write acc7, 0x0                          // initC
v_accvgpr_write acc8, 0x0                          // initC
v_accvgpr_write acc9, 0x0                          // initC
v_accvgpr_write acc10, 0x0                         // initC
v_accvgpr_write acc11, 0x0                         // initC
v_accvgpr_write acc12, 0x0                         // initC
v_accvgpr_write acc13, 0x0                         // initC
v_accvgpr_write acc14, 0x0                         // initC
v_accvgpr_write acc15, 0x0                         // initC
v_accvgpr_write acc16, 0x0                         // initC
v_accvgpr_write acc17, 0x0                         // initC
v_accvgpr_write acc18, 0x0                         // initC
v_accvgpr_write acc19, 0x0                         // initC
v_accvgpr_write acc20, 0x0                         // initC
v_accvgpr_write acc21, 0x0                         // initC
v_accvgpr_write acc22, 0x0                         // initC
v_accvgpr_write acc23, 0x0                         // initC
v_accvgpr_write acc24, 0x0                         // initC
v_accvgpr_write acc25, 0x0                         // initC
v_accvgpr_write acc26, 0x0                         // initC
v_accvgpr_write acc27, 0x0                         // initC
v_accvgpr_write acc28, 0x0                         // initC
v_accvgpr_write acc29, 0x0                         // initC
v_accvgpr_write acc30, 0x0                         // initC
v_accvgpr_write acc31, 0x0                         // initC
v_accvgpr_write acc32, 0x0                         // initC
v_accvgpr_write acc33, 0x0                         // initC
v_accvgpr_write acc34, 0x0                         // initC
v_accvgpr_write acc35, 0x0                         // initC
v_accvgpr_write acc36, 0x0                         // initC
v_accvgpr_write acc37, 0x0                         // initC
v_accvgpr_write acc38, 0x0                         // initC
v_accvgpr_write acc39, 0x0                         // initC
v_accvgpr_write acc40, 0x0                         // initC
v_accvgpr_write acc41, 0x0                         // initC
v_accvgpr_write acc42, 0x0                         // initC
v_accvgpr_write acc43, 0x0                         // initC
v_accvgpr_write acc44, 0x0                         // initC
v_accvgpr_write acc45, 0x0                         // initC
v_accvgpr_write acc46, 0x0                         // initC
v_accvgpr_write acc47, 0x0                         // initC
v_accvgpr_write acc48, 0x0                         // initC
v_accvgpr_write acc49, 0x0                         // initC
v_accvgpr_write acc50, 0x0                         // initC
v_accvgpr_write acc51, 0x0                         // initC
v_accvgpr_write acc52, 0x0                         // initC
v_accvgpr_write acc53, 0x0                         // initC
v_accvgpr_write acc54, 0x0                         // initC
v_accvgpr_write acc55, 0x0                         // initC
v_accvgpr_write acc56, 0x0                         // initC
v_accvgpr_write acc57, 0x0                         // initC
v_accvgpr_write acc58, 0x0                         // initC
v_accvgpr_write acc59, 0x0                         // initC
v_accvgpr_write acc60, 0x0                         // initC
v_accvgpr_write acc61, 0x0                         // initC
v_accvgpr_write acc62, 0x0                         // initC
v_accvgpr_write acc63, 0x0                         // initC
v_accvgpr_write acc64, 0x0                         // initC
v_accvgpr_write acc65, 0x0                         // initC
v_accvgpr_write acc66, 0x0                         // initC
v_accvgpr_write acc67, 0x0                         // initC
v_accvgpr_write acc68, 0x0                         // initC
v_accvgpr_write acc69, 0x0                         // initC
v_accvgpr_write acc70, 0x0                         // initC
v_accvgpr_write acc71, 0x0                         // initC
v_accvgpr_write acc72, 0x0                         // initC
v_accvgpr_write acc73, 0x0                         // initC
v_accvgpr_write acc74, 0x0                         // initC
v_accvgpr_write acc75, 0x0                         // initC
v_accvgpr_write acc76, 0x0                         // initC
v_accvgpr_write acc77, 0x0                         // initC
v_accvgpr_write acc78, 0x0                         // initC
v_accvgpr_write acc79, 0x0                         // initC
v_accvgpr_write acc80, 0x0                         // initC
v_accvgpr_write acc81, 0x0                         // initC
v_accvgpr_write acc82, 0x0                         // initC
v_accvgpr_write acc83, 0x0                         // initC
v_accvgpr_write acc84, 0x0                         // initC
v_accvgpr_write acc85, 0x0                         // initC
v_accvgpr_write acc86, 0x0                         // initC
v_accvgpr_write acc87, 0x0                         // initC
v_accvgpr_write acc88, 0x0                         // initC
v_accvgpr_write acc89, 0x0                         // initC
v_accvgpr_write acc90, 0x0                         // initC
v_accvgpr_write acc91, 0x0                         // initC
v_accvgpr_write acc92, 0x0                         // initC
v_accvgpr_write acc93, 0x0                         // initC
v_accvgpr_write acc94, 0x0                         // initC
v_accvgpr_write acc95, 0x0                         // initC

s_cmp_eq_u32 s[sgprLoopCounterL], 0                // at last iteration?

/* after InitC, skip to end of prefetch last iter if numIter==0 */
s_cbranch_scc0 label_NoBranch_11                   // Only branch on scc1
s_getpc_B64 s[68:69]                               // addr of next instr
s_add_i32 s70, PrefetchGlobalLastIterEnd_5, 0x4    // target branch offset
s_add_u32 s68, s68, s70                            // add target branch offset
s_addc_u32 s69, s69, 0                             // add high and carry
s_setpc_b64 s[68:69]                               // branch to PrefetchGlobalLastIterEnd_5
label_NoBranch_11:

s_waitcnt vmcnt(0)                                 // lgkmcnt=-1 vmcnt=0 8wait for global read


/* local write a */
_ds_store_b128 v[vgprLocalWriteAddrA], v[vgprG2LA+0:vgprG2LA+0+3] offset:0 // lwoA_0_0_0_0 = (0*LSCA)*(MT0I+PAD) + (0*LSPA) = 0
_ds_store_b128 v[vgprLocalWriteAddrA], v[vgprG2LA+4:vgprG2LA+4+3] offset:5120 // lwoA_0_0_1_0 = (0*LSCA)*(MT0I+PAD) + (1*LSPA) = 5120
_ds_store_b128 v[vgprLocalWriteAddrA], v[vgprG2LA+8:vgprG2LA+8+3] offset:10240 // lwoA_0_0_2_0 = (0*LSCA)*(MT0I+PAD) + (2*LSPA) = 10240
_ds_store_b128 v[vgprLocalWriteAddrA], v[vgprG2LA+12:vgprG2LA+12+3] offset:15360 // lwoA_0_0_3_0 = (0*LSCA)*(MT0I+PAD) + (3*LSPA) = 15360
_ds_store_b128 v[vgprLocalWriteAddrA], v[vgprG2LA+16:vgprG2LA+16+3] offset:20480 // lwoA_0_0_4_0 = (0*LSCA)*(MT0I+PAD) + (4*LSPA) = 20480
_ds_store_b128 v[vgprLocalWriteAddrA], v[vgprG2LA+20:vgprG2LA+20+3] offset:25600 // lwoA_0_0_5_0 = (0*LSCA)*(MT0I+PAD) + (5*LSPA) = 25600

/* local write b */
_ds_store_b128 v[vgprLocalWriteAddrB], v[vgprG2LB+0:vgprG2LB+0+3] offset:0 // lwoB_0_0_0_0 = (0*LSCB) + (0*LSPB)(*MT1J+PAD) = 0
_ds_store_b128 v[vgprLocalWriteAddrB], v[vgprG2LB+4:vgprG2LB+4+3] offset:4096 // lwoB_0_0_1_0 = (0*LSCB) + (1*LSPB)(*MT1J+PAD) = 4096
_ds_store_b128 v[vgprLocalWriteAddrB], v[vgprG2LB+8:vgprG2LB+8+3] offset:8192 // lwoB_0_0_2_0 = (0*LSCB) + (2*LSPB)(*MT1J+PAD) = 8192
_ds_store_b128 v[vgprLocalWriteAddrB], v[vgprG2LB+12:vgprG2LB+12+3] offset:12288 // lwoB_0_0_3_0 = (0*LSCB) + (3*LSPB)(*MT1J+PAD) = 12288


/* local write swap a */


	;; [unrolled: 1-line block ×3, first 2 shown]
/* local write swap b */




s_cmp_eq_u32 s[sgprLoopCounterL] 0x1               // PGR=2 but only 1 loop
s_cbranch_scc1 label_0012                          // PGR=2 but only 1 loop


_buffer_load_b128 v[vgprG2LA+0:vgprG2LA+0+3], v[vgprGlobalReadOffsetA+0], s[sgprSrdA:sgprSrdA+3], 0, offen offset:0 // G -> Reg 0_0_0_0
_buffer_load_b128 v[vgprG2LA+4:vgprG2LA+4+3], v[vgprGlobalReadOffsetA+0], s[sgprSrdA:sgprSrdA+3], s[sgprScalarGlobalReadOffsetA+0], offen offset:0 // G -> Reg 0_0_1_0
_buffer_load_b128 v[vgprG2LA+8:vgprG2LA+8+3], v[vgprGlobalReadOffsetA+0], s[sgprSrdA:sgprSrdA+3], s[sgprScalarGlobalReadOffsetA+1], offen offset:0 // G -> Reg 0_0_2_0
_buffer_load_b128 v[vgprG2LA+12:vgprG2LA+12+3], v[vgprGlobalReadOffsetA+0], s[sgprSrdA:sgprSrdA+3], s[sgprScalarGlobalReadOffsetA+2], offen offset:0 // G -> Reg 0_0_3_0
_buffer_load_b128 v[vgprG2LA+16:vgprG2LA+16+3], v[vgprGlobalReadOffsetA+0], s[sgprSrdA:sgprSrdA+3], s[sgprScalarGlobalReadOffsetA+3], offen offset:0 // G -> Reg 0_0_4_0
_buffer_load_b128 v[vgprG2LA+20:vgprG2LA+20+3], v[vgprGlobalReadOffsetA+0], s[sgprSrdA:sgprSrdA+3], s[sgprScalarGlobalReadOffsetA+4], offen offset:0 // G -> Reg 0_0_5_0


_buffer_load_b128 v[vgprG2LB+0:vgprG2LB+0+3], v[vgprGlobalReadOffsetB+0], s[sgprSrdB:sgprSrdB+3], 0, offen offset:0 // G -> Reg 0_0_0_0
_buffer_load_b128 v[vgprG2LB+4:vgprG2LB+4+3], v[vgprGlobalReadOffsetB+0], s[sgprSrdB:sgprSrdB+3], s[sgprScalarGlobalReadOffsetB+0], offen offset:0 // G -> Reg 0_0_1_0
_buffer_load_b128 v[vgprG2LB+8:vgprG2LB+8+3], v[vgprGlobalReadOffsetB+0], s[sgprSrdB:sgprSrdB+3], s[sgprScalarGlobalReadOffsetB+1], offen offset:0 // G -> Reg 0_0_2_0
_buffer_load_b128 v[vgprG2LB+12:vgprG2LB+12+3], v[vgprGlobalReadOffsetB+0], s[sgprSrdB:sgprSrdB+3], s[sgprScalarGlobalReadOffsetB+2], offen offset:0 // G -> Reg 0_0_3_0

label_0012:                                        // 

s_waitcnt lgkmcnt(0)                               // lgkmcnt=0 vmcnt=-10prefetch wait for local write

// Skip force waitcnt0
s_barrier //


/* local read prefetch a */

_ds_load_b128 v[vgprValuA_X0_I0+0:vgprValuA_X0_I0+0+3], v[vgprLocalReadAddrA] offset:0 // L -> Reg lro=0 swapByteOffset=0 ti=32 vIdx=0 rIdx=0 oIdx=0 buffer=0 iui=0
_ds_load_b128 v[vgprValuA_X0_I0+4:vgprValuA_X0_I0+4+3], v[vgprLocalReadAddrA] offset:10240 // L -> Reg lro=0 swapByteOffset=0 ti=32 vIdx=1 rIdx=0 oIdx=0 buffer=0 iui=0
	;; [unrolled: 1-line block ×3, first 2 shown]


/* local read prefetch b */

_ds_load_b128 v[vgprValuB_X0_I0+0:vgprValuB_X0_I0+0+3], v[vgprLocalReadAddrB] offset:0 // L -> Reg lro=0 swapByteOffset=0 ti=32 vIdx=0 rIdx=0 oIdx=0 buffer=0 iui=0
_ds_load_b128 v[vgprValuB_X0_I0+4:vgprValuB_X0_I0+4+3], v[vgprLocalReadAddrB] offset:512 // L -> Reg lro=0 swapByteOffset=0 ti=32 vIdx=1 rIdx=0 oIdx=0 buffer=0 iui=0


/* local read inc a */

/* N/A, lro->4 */
/* self.localReadDoCntA 1 self.localReadDoCntB 1 */


/* local read inc b */

/* N/A, lro->256 */
/* self.localReadDoCntA 1 self.localReadDoCntB 1 */


	;; [unrolled: 1-line block ×3, first 2 shown]
/******************************************/
/* Unrolled Loop(s) - Begin               */
/******************************************/

openLoopL_13:
s_cmp_eq_u32 s[sgprLoopCounterL], 0x1              // LoopCounterL < EndCounter
s_cbranch_scc1 label_0014                          // PGR=2 but only 1 loop, toPGR1
s_cmp_le_u32 s[sgprLoopCounterL], 0x2              // LoopCounterL < EndCounter
s_cbranch_scc1 LoopEndL_evenexit_4                 // do not enter LoopL
LoopBeginL_1:


/******************************************/
/* Unrolled Loop 1/2 - Begin              */
/******************************************/

label_0015: // LoopCopy1 


/* Begin Each Unroll: Check VGPR.checkin for INT8 LW */


	;; [unrolled: 1-line block ×3, first 2 shown]
/* iter 0 */

/*  grEndMfmaIndex:4, lwStartMfmaIndex:59, lwEndMfmaIndex:84  */
/*  numMfmaForLR:9, barrierMfmaIndex:86, LocalWritePerMfma:0.375 */
/*  mfmaIndex:0  */
s_waitcnt lgkmcnt(0)                               // lgkmcnt=0 vmcnt=-1wait for prior local read local write old=0, new=0 newLW=0 newLR=0
v_add_f64 v[88:89], -v[vgprValuA_X0_I0+0+0+0+2:vgprValuA_X0_I0+0+0+0+2+1], 0 // Ai=-Ai
v_add_f64 v[90:91], -v[vgprValuA_X0_I0+0+0+0:vgprValuA_X0_I0+0+0+0+1], 0 // Ar=-Ar
v_mfma_f64_16x16x4f64 a[0+0:7+0], v[vgprValuB_X0_I0+0+0+0:vgprValuB_X0_I0+0+0+0+1], v[vgprValuA_X0_I0+0+0+0:vgprValuA_X0_I0+0+0+0+1], a[0:7]
 // Cr += Ar*Br
/*  mfmaIndex:1  */
_ds_load_b128 v[vgprValuA_X1_I0+0:vgprValuA_X1_I0+0+3], v[vgprLocalReadAddrA] offset:64 // L -> Reg lro=4 swapByteOffset=0 ti=32 vIdx=0 rIdx=0 oIdx=0 buffer=1 iui=0

/* global read inc A loopL */
s_add_u32 s[sgprSrdA+0], s[sgprSrdA+0], s[sgprGlobalReadIncsA+0] // gra SRD += inc(lower)
s_addc_u32  s[sgprSrdA+1], s[sgprSrdA+1], 0        // gra SRD += inc(upper)
s_sub_u32 s[sgprShadowLimitA+0], s[sgprShadowLimitA+0], s[sgprGlobalReadIncsA+0] // limit -= inc)
v_mfma_f64_16x16x4f64 a[48+0:55+0], v[vgprValuB_X0_I0+0+0+0:vgprValuB_X0_I0+0+0+0+1], v[88:89], a[48:55]
 // Ci += -Ai*Br
/*  mfmaIndex:2  */
_ds_load_b128 v[vgprValuB_X1_I0+0:vgprValuB_X1_I0+0+3], v[vgprLocalReadAddrB] offset:4096 // L -> Reg lro=256 swapByteOffset=0 ti=32 vIdx=0 rIdx=0 oIdx=0 buffer=1 iui=0
s_subb_u32 s[sgprShadowLimitA+1], s[sgprShadowLimitA+1], 0 // limit -= inc)
s_cmp_eq_u32 s[sgprShadowLimitA+1], 0              // are we within 2^32?
s_cmov_b32 s[sgprSrdA+2], s[sgprShadowLimitA+0]    // Move shadow to real if we are within 2^32
v_mfma_f64_16x16x4f64 a[0+0:7+0], v[vgprValuB_X0_I0+0+0+0+2:vgprValuB_X0_I0+0+0+0+2+1], v[88:89], a[0:7]
 // Cr += -Ai*Bi
/*  mfmaIndex:3  */
_ds_load_b128 v[vgprValuA_X1_I0+4:vgprValuA_X1_I0+4+3], v[vgprLocalReadAddrA] offset:10304 // L -> Reg lro=4 swapByteOffset=0 ti=32 vIdx=1 rIdx=0 oIdx=0 buffer=1 iui=0

/* global read inc B loopL */
s_add_u32 s[sgprSrdB+0], s[sgprSrdB+0], s[sgprGlobalReadIncsB+0] // gra SRD += inc(lower)
s_addc_u32  s[sgprSrdB+1], s[sgprSrdB+1], 0        // gra SRD += inc(upper)
s_sub_u32 s[sgprShadowLimitB+0], s[sgprShadowLimitB+0], s[sgprGlobalReadIncsB+0] // limit -= inc)
v_mfma_f64_16x16x4f64 a[48+0:55+0], v[vgprValuB_X0_I0+0+0+0+2:vgprValuB_X0_I0+0+0+0+2+1], v[90:91], a[48:55]
 // Ci += -Ar*Bi
/*  mfmaIndex:4  */
_ds_load_b128 v[vgprValuA_X1_I0+8:vgprValuA_X1_I0+8+3], v[vgprLocalReadAddrA] offset:20544 // L -> Reg lro=4 swapByteOffset=0 ti=32 vIdx=2 rIdx=0 oIdx=0 buffer=1 iui=0
s_subb_u32 s[sgprShadowLimitB+1], s[sgprShadowLimitB+1], 0 // limit -= inc)
s_cmp_eq_u32 s[sgprShadowLimitB+1], 0              // are we within 2^32?
s_cmov_b32 s[sgprSrdB+2], s[sgprShadowLimitB+0]    // Move shadow to real if we are within 2^32
v_mfma_f64_16x16x4f64 a[24+0:31+0], v[vgprValuB_X0_I0+4+0+0:vgprValuB_X0_I0+4+0+0+1], v[vgprValuA_X0_I0+0+0+0:vgprValuA_X0_I0+0+0+0+1], a[24:31]
 // Cr += Ar*Br
/*  mfmaIndex:5  */
_ds_load_b128 v[vgprValuB_X1_I0+4:vgprValuB_X1_I0+4+3], v[vgprLocalReadAddrB] offset:4608 // L -> Reg lro=256 swapByteOffset=0 ti=32 vIdx=1 rIdx=0 oIdx=0 buffer=1 iui=0
/* localReadsVacancy: latencyLeft 1 */
v_mfma_f64_16x16x4f64 a[72+0:79+0], v[vgprValuB_X0_I0+4+0+0:vgprValuB_X0_I0+4+0+0+1], v[88:89], a[72:79]
 // Ci += -Ai*Br
/*  mfmaIndex:6  */
/* localReadsVacancy: latencyLeft 5 */
v_mfma_f64_16x16x4f64 a[24+0:31+0], v[vgprValuB_X0_I0+4+0+0+2:vgprValuB_X0_I0+4+0+0+2+1], v[88:89], a[24:31]
 // Cr += -Ai*Bi
/*  mfmaIndex:7  */
/* localReadsVacancy: latencyLeft 5 */
v_mfma_f64_16x16x4f64 a[72+0:79+0], v[vgprValuB_X0_I0+4+0+0+2:vgprValuB_X0_I0+4+0+0+2+1], v[90:91], a[72:79]
 // Ci += -Ar*Bi
/*  mfmaIndex:8  */
/* localReadsVacancy: latencyLeft 5 */
v_add_f64 v[88:89], -v[vgprValuA_X0_I0+4+0+0+2:vgprValuA_X0_I0+4+0+0+2+1], 0 // Ai=-Ai
v_add_f64 v[90:91], -v[vgprValuA_X0_I0+4+0+0:vgprValuA_X0_I0+4+0+0+1], 0 // Ar=-Ar
v_mfma_f64_16x16x4f64 a[8+0:15+0], v[vgprValuB_X0_I0+0+0+0:vgprValuB_X0_I0+0+0+0+1], v[vgprValuA_X0_I0+4+0+0:vgprValuA_X0_I0+4+0+0+1], a[8:15]
 // Cr += Ar*Br
/*  mfmaIndex:9  */
/* localReadsVacancy: latencyLeft 5 */
v_mfma_f64_16x16x4f64 a[56+0:63+0], v[vgprValuB_X0_I0+0+0+0:vgprValuB_X0_I0+0+0+0+1], v[88:89], a[56:63]
 // Ci += -Ai*Br
/*  mfmaIndex:10  */
/* localReadsVacancy: latencyLeft 5 */
v_mfma_f64_16x16x4f64 a[8+0:15+0], v[vgprValuB_X0_I0+0+0+0+2:vgprValuB_X0_I0+0+0+0+2+1], v[88:89], a[8:15]
 // Cr += -Ai*Bi
/*  mfmaIndex:11  */
/* localReadsVacancy: latencyLeft 5 */
v_mfma_f64_16x16x4f64 a[56+0:63+0], v[vgprValuB_X0_I0+0+0+0+2:vgprValuB_X0_I0+0+0+0+2+1], v[90:91], a[56:63]
 // Ci += -Ar*Bi
/*  mfmaIndex:12  */
/* localReadsVacancy: latencyLeft 5 */
v_mfma_f64_16x16x4f64 a[32+0:39+0], v[vgprValuB_X0_I0+4+0+0:vgprValuB_X0_I0+4+0+0+1], v[vgprValuA_X0_I0+4+0+0:vgprValuA_X0_I0+4+0+0+1], a[32:39]
 // Cr += Ar*Br
/*  mfmaIndex:13  */
/* localReadsVacancy: latencyLeft 5 */
v_mfma_f64_16x16x4f64 a[80+0:87+0], v[vgprValuB_X0_I0+4+0+0:vgprValuB_X0_I0+4+0+0+1], v[88:89], a[80:87]
 // Ci += -Ai*Br
/*  mfmaIndex:14  */
/* localReadsVacancy: latencyLeft 5 */
v_mfma_f64_16x16x4f64 a[32+0:39+0], v[vgprValuB_X0_I0+4+0+0+2:vgprValuB_X0_I0+4+0+0+2+1], v[88:89], a[32:39]
 // Cr += -Ai*Bi
/*  mfmaIndex:15  */
/* localReadsVacancy: latencyLeft 5 */
v_mfma_f64_16x16x4f64 a[80+0:87+0], v[vgprValuB_X0_I0+4+0+0+2:vgprValuB_X0_I0+4+0+0+2+1], v[90:91], a[80:87]
 // Ci += -Ar*Bi
/*  mfmaIndex:16  */
/* localReadsVacancy: latencyLeft 5 */
v_add_f64 v[88:89], -v[vgprValuA_X0_I0+8+0+0+2:vgprValuA_X0_I0+8+0+0+2+1], 0 // Ai=-Ai
v_add_f64 v[90:91], -v[vgprValuA_X0_I0+8+0+0:vgprValuA_X0_I0+8+0+0+1], 0 // Ar=-Ar
v_mfma_f64_16x16x4f64 a[16+0:23+0], v[vgprValuB_X0_I0+0+0+0:vgprValuB_X0_I0+0+0+0+1], v[vgprValuA_X0_I0+8+0+0:vgprValuA_X0_I0+8+0+0+1], a[16:23]
 // Cr += Ar*Br
/*  mfmaIndex:17  */
/* localReadsVacancy: latencyLeft 5 */
v_mfma_f64_16x16x4f64 a[64+0:71+0], v[vgprValuB_X0_I0+0+0+0:vgprValuB_X0_I0+0+0+0+1], v[88:89], a[64:71]
 // Ci += -Ai*Br
/*  mfmaIndex:18  */
/* localReadsVacancy: latencyLeft 5 */
v_mfma_f64_16x16x4f64 a[16+0:23+0], v[vgprValuB_X0_I0+0+0+0+2:vgprValuB_X0_I0+0+0+0+2+1], v[88:89], a[16:23]
 // Cr += -Ai*Bi
/*  mfmaIndex:19  */
/* localReadsVacancy: latencyLeft 5 */
v_mfma_f64_16x16x4f64 a[64+0:71+0], v[vgprValuB_X0_I0+0+0+0+2:vgprValuB_X0_I0+0+0+0+2+1], v[90:91], a[64:71]
 // Ci += -Ar*Bi
/*  mfmaIndex:20  */
/* localReadsVacancy: latencyLeft 5 */
v_mfma_f64_16x16x4f64 a[40+0:47+0], v[vgprValuB_X0_I0+4+0+0:vgprValuB_X0_I0+4+0+0+1], v[vgprValuA_X0_I0+8+0+0:vgprValuA_X0_I0+8+0+0+1], a[40:47]
 // Cr += Ar*Br
/*  mfmaIndex:21  */
/* localReadsVacancy: latencyLeft 5 */
v_mfma_f64_16x16x4f64 a[88+0:95+0], v[vgprValuB_X0_I0+4+0+0:vgprValuB_X0_I0+4+0+0+1], v[88:89], a[88:95]
 // Ci += -Ai*Br
/*  mfmaIndex:22  */
/* localReadsVacancy: latencyLeft 5 */
v_mfma_f64_16x16x4f64 a[40+0:47+0], v[vgprValuB_X0_I0+4+0+0+2:vgprValuB_X0_I0+4+0+0+2+1], v[88:89], a[40:47]
 // Cr += -Ai*Bi
/*  mfmaIndex:23  */
/* localReadsVacancy: latencyLeft 5 */
v_mfma_f64_16x16x4f64 a[88+0:95+0], v[vgprValuB_X0_I0+4+0+0+2:vgprValuB_X0_I0+4+0+0+2+1], v[90:91], a[88:95]
 // Ci += -Ar*Bi
/* numPrefetchIter=0 */
/* dataAtIterA=-1 numReadsIterA=1 skipReadsIterA=1 readsPerIterA=3 */
/* dataAtIterB=-1 numReadsIterB=1 skipReadsIterB=1 readsPerIterB=2 */


/* iter 1 */

/*  grEndMfmaIndex:4, lwStartMfmaIndex:59, lwEndMfmaIndex:84  */
/*  numMfmaForLR:9, barrierMfmaIndex:86, LocalWritePerMfma:0.375 */
/*  mfmaIndex:24  */
_ds_load_b128 v[vgprValuA_X0_I0+0:vgprValuA_X0_I0+0+3], v[vgprLocalReadAddrA] offset:128 // L -> Reg lro=8 swapByteOffset=0 ti=32 vIdx=0 rIdx=0 oIdx=0 buffer=0 iui=0
s_waitcnt lgkmcnt(1)                               // lgkmcnt=0 vmcnt=-1wait for prior local read local write old=0, new=1 newLW=0 newLR=1
v_add_f64 v[88:89], -v[vgprValuA_X1_I0+0+0+0+2:vgprValuA_X1_I0+0+0+0+2+1], 0 // Ai=-Ai
v_add_f64 v[90:91], -v[vgprValuA_X1_I0+0+0+0:vgprValuA_X1_I0+0+0+0+1], 0 // Ar=-Ar
v_mfma_f64_16x16x4f64 a[0+0:7+0], v[vgprValuB_X1_I0+0+0+0:vgprValuB_X1_I0+0+0+0+1], v[vgprValuA_X1_I0+0+0+0:vgprValuA_X1_I0+0+0+0+1], a[0:7]
 // Cr += Ar*Br
/*  mfmaIndex:25  */
_ds_load_b128 v[vgprValuB_X0_I0+0:vgprValuB_X0_I0+0+3], v[vgprLocalReadAddrB] offset:8192 // L -> Reg lro=512 swapByteOffset=0 ti=32 vIdx=0 rIdx=0 oIdx=0 buffer=0 iui=0
v_mfma_f64_16x16x4f64 a[48+0:55+0], v[vgprValuB_X1_I0+0+0+0:vgprValuB_X1_I0+0+0+0+1], v[88:89], a[48:55]
 // Ci += -Ai*Br
/*  mfmaIndex:26  */
_ds_load_b128 v[vgprValuA_X0_I0+4:vgprValuA_X0_I0+4+3], v[vgprLocalReadAddrA] offset:10368 // L -> Reg lro=8 swapByteOffset=0 ti=32 vIdx=1 rIdx=0 oIdx=0 buffer=0 iui=0
v_mfma_f64_16x16x4f64 a[0+0:7+0], v[vgprValuB_X1_I0+0+0+0+2:vgprValuB_X1_I0+0+0+0+2+1], v[88:89], a[0:7]
 // Cr += -Ai*Bi
/*  mfmaIndex:27  */
_ds_load_b128 v[vgprValuA_X0_I0+8:vgprValuA_X0_I0+8+3], v[vgprLocalReadAddrA] offset:20608 // L -> Reg lro=8 swapByteOffset=0 ti=32 vIdx=2 rIdx=0 oIdx=0 buffer=0 iui=0
v_mfma_f64_16x16x4f64 a[48+0:55+0], v[vgprValuB_X1_I0+0+0+0+2:vgprValuB_X1_I0+0+0+0+2+1], v[90:91], a[48:55]
 // Ci += -Ar*Bi
/*  mfmaIndex:28  */
_ds_load_b128 v[vgprValuB_X0_I0+4:vgprValuB_X0_I0+4+3], v[vgprLocalReadAddrB] offset:8704 // L -> Reg lro=512 swapByteOffset=0 ti=32 vIdx=1 rIdx=0 oIdx=0 buffer=0 iui=0
/* localReadsVacancy: latencyLeft 1 */
v_mfma_f64_16x16x4f64 a[24+0:31+0], v[vgprValuB_X1_I0+4+0+0:vgprValuB_X1_I0+4+0+0+1], v[vgprValuA_X1_I0+0+0+0:vgprValuA_X1_I0+0+0+0+1], a[24:31]
 // Cr += Ar*Br
/*  mfmaIndex:29  */
/* localReadsVacancy: latencyLeft 5 */
v_mfma_f64_16x16x4f64 a[72+0:79+0], v[vgprValuB_X1_I0+4+0+0:vgprValuB_X1_I0+4+0+0+1], v[88:89], a[72:79]
 // Ci += -Ai*Br
/*  mfmaIndex:30  */
/* localReadsVacancy: latencyLeft 5 */
v_mfma_f64_16x16x4f64 a[24+0:31+0], v[vgprValuB_X1_I0+4+0+0+2:vgprValuB_X1_I0+4+0+0+2+1], v[88:89], a[24:31]
 // Cr += -Ai*Bi
/*  mfmaIndex:31  */
/* localReadsVacancy: latencyLeft 5 */
v_mfma_f64_16x16x4f64 a[72+0:79+0], v[vgprValuB_X1_I0+4+0+0+2:vgprValuB_X1_I0+4+0+0+2+1], v[90:91], a[72:79]
 // Ci += -Ar*Bi
/*  mfmaIndex:32  */
/* localReadsVacancy: latencyLeft 5 */
v_add_f64 v[88:89], -v[vgprValuA_X1_I0+4+0+0+2:vgprValuA_X1_I0+4+0+0+2+1], 0 // Ai=-Ai
v_add_f64 v[90:91], -v[vgprValuA_X1_I0+4+0+0:vgprValuA_X1_I0+4+0+0+1], 0 // Ar=-Ar
v_mfma_f64_16x16x4f64 a[8+0:15+0], v[vgprValuB_X1_I0+0+0+0:vgprValuB_X1_I0+0+0+0+1], v[vgprValuA_X1_I0+4+0+0:vgprValuA_X1_I0+4+0+0+1], a[8:15]
 // Cr += Ar*Br
/*  mfmaIndex:33  */
/* localReadsVacancy: latencyLeft 5 */
v_mfma_f64_16x16x4f64 a[56+0:63+0], v[vgprValuB_X1_I0+0+0+0:vgprValuB_X1_I0+0+0+0+1], v[88:89], a[56:63]
 // Ci += -Ai*Br
/*  mfmaIndex:34  */
/* localReadsVacancy: latencyLeft 5 */
v_mfma_f64_16x16x4f64 a[8+0:15+0], v[vgprValuB_X1_I0+0+0+0+2:vgprValuB_X1_I0+0+0+0+2+1], v[88:89], a[8:15]
 // Cr += -Ai*Bi
/*  mfmaIndex:35  */
/* localReadsVacancy: latencyLeft 5 */
v_mfma_f64_16x16x4f64 a[56+0:63+0], v[vgprValuB_X1_I0+0+0+0+2:vgprValuB_X1_I0+0+0+0+2+1], v[90:91], a[56:63]
 // Ci += -Ar*Bi
/*  mfmaIndex:36  */
/* localReadsVacancy: latencyLeft 5 */
v_mfma_f64_16x16x4f64 a[32+0:39+0], v[vgprValuB_X1_I0+4+0+0:vgprValuB_X1_I0+4+0+0+1], v[vgprValuA_X1_I0+4+0+0:vgprValuA_X1_I0+4+0+0+1], a[32:39]
 // Cr += Ar*Br
/*  mfmaIndex:37  */
/* localReadsVacancy: latencyLeft 5 */
v_mfma_f64_16x16x4f64 a[80+0:87+0], v[vgprValuB_X1_I0+4+0+0:vgprValuB_X1_I0+4+0+0+1], v[88:89], a[80:87]
 // Ci += -Ai*Br
/*  mfmaIndex:38  */
/* localReadsVacancy: latencyLeft 5 */
v_mfma_f64_16x16x4f64 a[32+0:39+0], v[vgprValuB_X1_I0+4+0+0+2:vgprValuB_X1_I0+4+0+0+2+1], v[88:89], a[32:39]
 // Cr += -Ai*Bi
/*  mfmaIndex:39  */
/* localReadsVacancy: latencyLeft 5 */
v_mfma_f64_16x16x4f64 a[80+0:87+0], v[vgprValuB_X1_I0+4+0+0+2:vgprValuB_X1_I0+4+0+0+2+1], v[90:91], a[80:87]
 // Ci += -Ar*Bi
/*  mfmaIndex:40  */
/* localReadsVacancy: latencyLeft 5 */
v_add_f64 v[88:89], -v[vgprValuA_X1_I0+8+0+0+2:vgprValuA_X1_I0+8+0+0+2+1], 0 // Ai=-Ai
v_add_f64 v[90:91], -v[vgprValuA_X1_I0+8+0+0:vgprValuA_X1_I0+8+0+0+1], 0 // Ar=-Ar
v_mfma_f64_16x16x4f64 a[16+0:23+0], v[vgprValuB_X1_I0+0+0+0:vgprValuB_X1_I0+0+0+0+1], v[vgprValuA_X1_I0+8+0+0:vgprValuA_X1_I0+8+0+0+1], a[16:23]
 // Cr += Ar*Br
/*  mfmaIndex:41  */
/* localReadsVacancy: latencyLeft 5 */
v_mfma_f64_16x16x4f64 a[64+0:71+0], v[vgprValuB_X1_I0+0+0+0:vgprValuB_X1_I0+0+0+0+1], v[88:89], a[64:71]
 // Ci += -Ai*Br
/*  mfmaIndex:42  */
/* localReadsVacancy: latencyLeft 5 */
v_mfma_f64_16x16x4f64 a[16+0:23+0], v[vgprValuB_X1_I0+0+0+0+2:vgprValuB_X1_I0+0+0+0+2+1], v[88:89], a[16:23]
 // Cr += -Ai*Bi
/*  mfmaIndex:43  */
/* localReadsVacancy: latencyLeft 5 */
v_mfma_f64_16x16x4f64 a[64+0:71+0], v[vgprValuB_X1_I0+0+0+0+2:vgprValuB_X1_I0+0+0+0+2+1], v[90:91], a[64:71]
 // Ci += -Ar*Bi
/*  mfmaIndex:44  */
/* localReadsVacancy: latencyLeft 5 */
v_mfma_f64_16x16x4f64 a[40+0:47+0], v[vgprValuB_X1_I0+4+0+0:vgprValuB_X1_I0+4+0+0+1], v[vgprValuA_X1_I0+8+0+0:vgprValuA_X1_I0+8+0+0+1], a[40:47]
 // Cr += Ar*Br
/*  mfmaIndex:45  */
/* localReadsVacancy: latencyLeft 5 */
v_mfma_f64_16x16x4f64 a[88+0:95+0], v[vgprValuB_X1_I0+4+0+0:vgprValuB_X1_I0+4+0+0+1], v[88:89], a[88:95]
 // Ci += -Ai*Br
/*  mfmaIndex:46  */
/* localReadsVacancy: latencyLeft 5 */
v_mfma_f64_16x16x4f64 a[40+0:47+0], v[vgprValuB_X1_I0+4+0+0+2:vgprValuB_X1_I0+4+0+0+2+1], v[88:89], a[40:47]
 // Cr += -Ai*Bi
/*  mfmaIndex:47  */
/* localReadsVacancy: latencyLeft 5 */
v_mfma_f64_16x16x4f64 a[88+0:95+0], v[vgprValuB_X1_I0+4+0+0+2:vgprValuB_X1_I0+4+0+0+2+1], v[90:91], a[88:95]
 // Ci += -Ar*Bi
/* numPrefetchIter=0 */
/* dataAtIterA=0 numReadsIterA=2 skipReadsIterA=1 readsPerIterA=3 */
/* dataAtIterB=0 numReadsIterB=2 skipReadsIterB=1 readsPerIterB=2 */


/* iter 2 (reset local read pointers iteration)  (swap local read pointers iteration)  */

/*  grEndMfmaIndex:4, lwStartMfmaIndex:59, lwEndMfmaIndex:84  */
/*  numMfmaForLR:9, barrierMfmaIndex:86, LocalWritePerMfma:0.375 */
/*  mfmaIndex:48  */
_ds_load_b128 v[vgprValuA_X1_I0+0:vgprValuA_X1_I0+0+3], v[vgprLocalReadAddrA] offset:192 // L -> Reg lro=12 swapByteOffset=0 ti=32 vIdx=0 rIdx=0 oIdx=0 buffer=1 iui=0
s_waitcnt lgkmcnt(1)                               // lgkmcnt=0 vmcnt=-1wait for prior local read local write old=0, new=1 newLW=0 newLR=1
v_add_f64 v[88:89], -v[vgprValuA_X0_I0+0+0+0+2:vgprValuA_X0_I0+0+0+0+2+1], 0 // Ai=-Ai
v_add_f64 v[90:91], -v[vgprValuA_X0_I0+0+0+0:vgprValuA_X0_I0+0+0+0+1], 0 // Ar=-Ar
v_mfma_f64_16x16x4f64 a[0+0:7+0], v[vgprValuB_X0_I0+0+0+0:vgprValuB_X0_I0+0+0+0+1], v[vgprValuA_X0_I0+0+0+0:vgprValuA_X0_I0+0+0+0+1], a[0:7]
 // Cr += Ar*Br
/*  mfmaIndex:49  */
_ds_load_b128 v[vgprValuB_X1_I0+0:vgprValuB_X1_I0+0+3], v[vgprLocalReadAddrB] offset:12288 // L -> Reg lro=768 swapByteOffset=0 ti=32 vIdx=0 rIdx=0 oIdx=0 buffer=1 iui=0
v_mfma_f64_16x16x4f64 a[48+0:55+0], v[vgprValuB_X0_I0+0+0+0:vgprValuB_X0_I0+0+0+0+1], v[88:89], a[48:55]
 // Ci += -Ai*Br
/*  mfmaIndex:50  */
_ds_load_b128 v[vgprValuA_X1_I0+4:vgprValuA_X1_I0+4+3], v[vgprLocalReadAddrA] offset:10432 // L -> Reg lro=12 swapByteOffset=0 ti=32 vIdx=1 rIdx=0 oIdx=0 buffer=1 iui=0
v_mfma_f64_16x16x4f64 a[0+0:7+0], v[vgprValuB_X0_I0+0+0+0+2:vgprValuB_X0_I0+0+0+0+2+1], v[88:89], a[0:7]
 // Cr += -Ai*Bi
/*  mfmaIndex:51  */
_ds_load_b128 v[vgprValuA_X1_I0+8:vgprValuA_X1_I0+8+3], v[vgprLocalReadAddrA] offset:20672 // L -> Reg lro=12 swapByteOffset=0 ti=32 vIdx=2 rIdx=0 oIdx=0 buffer=1 iui=0
v_mfma_f64_16x16x4f64 a[48+0:55+0], v[vgprValuB_X0_I0+0+0+0+2:vgprValuB_X0_I0+0+0+0+2+1], v[90:91], a[48:55]
 // Ci += -Ar*Bi
/*  mfmaIndex:52  */
_ds_load_b128 v[vgprValuB_X1_I0+4:vgprValuB_X1_I0+4+3], v[vgprLocalReadAddrB] offset:12800 // L -> Reg lro=768 swapByteOffset=0 ti=32 vIdx=1 rIdx=0 oIdx=0 buffer=1 iui=0
/* localReadsVacancy: latencyLeft 1 */
v_mfma_f64_16x16x4f64 a[24+0:31+0], v[vgprValuB_X0_I0+4+0+0:vgprValuB_X0_I0+4+0+0+1], v[vgprValuA_X0_I0+0+0+0:vgprValuA_X0_I0+0+0+0+1], a[24:31]
 // Cr += Ar*Br
/*  mfmaIndex:53  */
/* localReadsVacancy: latencyLeft 5 */
v_mfma_f64_16x16x4f64 a[72+0:79+0], v[vgprValuB_X0_I0+4+0+0:vgprValuB_X0_I0+4+0+0+1], v[88:89], a[72:79]
 // Ci += -Ai*Br
/*  mfmaIndex:54  */
/* localReadsVacancy: latencyLeft 5 */
v_mfma_f64_16x16x4f64 a[24+0:31+0], v[vgprValuB_X0_I0+4+0+0+2:vgprValuB_X0_I0+4+0+0+2+1], v[88:89], a[24:31]
 // Cr += -Ai*Bi
/*  mfmaIndex:55  */
/* localReadsVacancy: latencyLeft 5 */
v_mfma_f64_16x16x4f64 a[72+0:79+0], v[vgprValuB_X0_I0+4+0+0+2:vgprValuB_X0_I0+4+0+0+2+1], v[90:91], a[72:79]
 // Ci += -Ar*Bi
/*  mfmaIndex:56  */
/* localReadsVacancy: latencyLeft 5 */
v_add_f64 v[88:89], -v[vgprValuA_X0_I0+4+0+0+2:vgprValuA_X0_I0+4+0+0+2+1], 0 // Ai=-Ai
v_add_f64 v[90:91], -v[vgprValuA_X0_I0+4+0+0:vgprValuA_X0_I0+4+0+0+1], 0 // Ar=-Ar
v_mfma_f64_16x16x4f64 a[8+0:15+0], v[vgprValuB_X0_I0+0+0+0:vgprValuB_X0_I0+0+0+0+1], v[vgprValuA_X0_I0+4+0+0:vgprValuA_X0_I0+4+0+0+1], a[8:15]
 // Cr += Ar*Br
/*  mfmaIndex:57  */
/* localReadsVacancy: latencyLeft 5 */
v_mfma_f64_16x16x4f64 a[56+0:63+0], v[vgprValuB_X0_I0+0+0+0:vgprValuB_X0_I0+0+0+0+1], v[88:89], a[56:63]
 // Ci += -Ai*Br
/*  mfmaIndex:58  */
/* localReadsVacancy: latencyLeft 5 */
/* 1 LDS buffer: read-sync-write */
s_waitcnt lgkmcnt(0)                               // 
s_barrier                                          // 
v_mfma_f64_16x16x4f64 a[8+0:15+0], v[vgprValuB_X0_I0+0+0+0+2:vgprValuB_X0_I0+0+0+0+2+1], v[88:89], a[8:15]
 // Cr += -Ai*Bi
/*  mfmaIndex:59  */
s_setprio 3                                        // store optimization
/* sched write - iter 2 writesPerItem=1 */
s_waitcnt vmcnt(0)                                 // lgkmcnt=-1 vmcnt=0wait for global read before writing to local
_ds_store_b128 v[vgprLocalWriteAddrA], v[vgprG2LA+0:vgprG2LA+0+3] offset:0 // lwoA_0_0_0_0 = (0*LSCA)*(MT0I+PAD) + (0*LSPA) = 0
v_mfma_f64_16x16x4f64 a[56+0:63+0], v[vgprValuB_X0_I0+0+0+0+2:vgprValuB_X0_I0+0+0+0+2+1], v[90:91], a[56:63]
 // Ci += -Ar*Bi
/*  mfmaIndex:60  */
_buffer_load_b128 v[vgprG2LA+0:vgprG2LA+0+3], v[vgprGlobalReadOffsetA+0], s[sgprSrdA:sgprSrdA+3], 0, offen offset:0 // G -> Reg 0_0_0_0
v_mfma_f64_16x16x4f64 a[32+0:39+0], v[vgprValuB_X0_I0+4+0+0:vgprValuB_X0_I0+4+0+0+1], v[vgprValuA_X0_I0+4+0+0:vgprValuA_X0_I0+4+0+0+1], a[32:39]
 // Cr += Ar*Br
/*  mfmaIndex:61  */
/* sched write - iter 2 writesPerItem=1 */
s_waitcnt vmcnt(0)                                 // lgkmcnt=-1 vmcnt=0wait for global read before writing to local
_ds_store_b128 v[vgprLocalWriteAddrA], v[vgprG2LA+4:vgprG2LA+4+3] offset:5120 // lwoA_0_0_1_0 = (0*LSCA)*(MT0I+PAD) + (1*LSPA) = 5120
v_mfma_f64_16x16x4f64 a[80+0:87+0], v[vgprValuB_X0_I0+4+0+0:vgprValuB_X0_I0+4+0+0+1], v[88:89], a[80:87]
 // Ci += -Ai*Br
/*  mfmaIndex:62  */
_buffer_load_b128 v[vgprG2LA+4:vgprG2LA+4+3], v[vgprGlobalReadOffsetA+0], s[sgprSrdA:sgprSrdA+3], s[sgprScalarGlobalReadOffsetA+0], offen offset:0 // G -> Reg 0_0_1_0
v_mfma_f64_16x16x4f64 a[32+0:39+0], v[vgprValuB_X0_I0+4+0+0+2:vgprValuB_X0_I0+4+0+0+2+1], v[88:89], a[32:39]
 // Cr += -Ai*Bi
/*  mfmaIndex:63  */
v_mfma_f64_16x16x4f64 a[80+0:87+0], v[vgprValuB_X0_I0+4+0+0+2:vgprValuB_X0_I0+4+0+0+2+1], v[90:91], a[80:87]
 // Ci += -Ar*Bi
/*  mfmaIndex:64  */
/* sched write - iter 2 writesPerItem=1 */
s_waitcnt vmcnt(0)                                 // lgkmcnt=-1 vmcnt=0wait for global read before writing to local
_ds_store_b128 v[vgprLocalWriteAddrA], v[vgprG2LA+8:vgprG2LA+8+3] offset:10240 // lwoA_0_0_2_0 = (0*LSCA)*(MT0I+PAD) + (2*LSPA) = 10240
v_add_f64 v[88:89], -v[vgprValuA_X0_I0+8+0+0+2:vgprValuA_X0_I0+8+0+0+2+1], 0 // Ai=-Ai
v_add_f64 v[90:91], -v[vgprValuA_X0_I0+8+0+0:vgprValuA_X0_I0+8+0+0+1], 0 // Ar=-Ar
v_mfma_f64_16x16x4f64 a[16+0:23+0], v[vgprValuB_X0_I0+0+0+0:vgprValuB_X0_I0+0+0+0+1], v[vgprValuA_X0_I0+8+0+0:vgprValuA_X0_I0+8+0+0+1], a[16:23]
 // Cr += Ar*Br
/*  mfmaIndex:65  */
_buffer_load_b128 v[vgprG2LA+8:vgprG2LA+8+3], v[vgprGlobalReadOffsetA+0], s[sgprSrdA:sgprSrdA+3], s[sgprScalarGlobalReadOffsetA+1], offen offset:0 // G -> Reg 0_0_2_0
v_mfma_f64_16x16x4f64 a[64+0:71+0], v[vgprValuB_X0_I0+0+0+0:vgprValuB_X0_I0+0+0+0+1], v[88:89], a[64:71]
 // Ci += -Ai*Br
/*  mfmaIndex:66  */
v_mfma_f64_16x16x4f64 a[16+0:23+0], v[vgprValuB_X0_I0+0+0+0+2:vgprValuB_X0_I0+0+0+0+2+1], v[88:89], a[16:23]
 // Cr += -Ai*Bi
/*  mfmaIndex:67  */
/* sched write - iter 2 writesPerItem=1 */
s_waitcnt vmcnt(0)                                 // lgkmcnt=-1 vmcnt=0wait for global read before writing to local
_ds_store_b128 v[vgprLocalWriteAddrA], v[vgprG2LA+12:vgprG2LA+12+3] offset:15360 // lwoA_0_0_3_0 = (0*LSCA)*(MT0I+PAD) + (3*LSPA) = 15360
v_mfma_f64_16x16x4f64 a[64+0:71+0], v[vgprValuB_X0_I0+0+0+0+2:vgprValuB_X0_I0+0+0+0+2+1], v[90:91], a[64:71]
 // Ci += -Ar*Bi
/*  mfmaIndex:68  */
_buffer_load_b128 v[vgprG2LA+12:vgprG2LA+12+3], v[vgprGlobalReadOffsetA+0], s[sgprSrdA:sgprSrdA+3], s[sgprScalarGlobalReadOffsetA+2], offen offset:0 // G -> Reg 0_0_3_0
v_mfma_f64_16x16x4f64 a[40+0:47+0], v[vgprValuB_X0_I0+4+0+0:vgprValuB_X0_I0+4+0+0+1], v[vgprValuA_X0_I0+8+0+0:vgprValuA_X0_I0+8+0+0+1], a[40:47]
 // Cr += Ar*Br
/*  mfmaIndex:69  */
/* sched write - iter 2 writesPerItem=1 */
s_waitcnt vmcnt(0)                                 // lgkmcnt=-1 vmcnt=0wait for global read before writing to local
_ds_store_b128 v[vgprLocalWriteAddrA], v[vgprG2LA+16:vgprG2LA+16+3] offset:20480 // lwoA_0_0_4_0 = (0*LSCA)*(MT0I+PAD) + (4*LSPA) = 20480
v_mfma_f64_16x16x4f64 a[88+0:95+0], v[vgprValuB_X0_I0+4+0+0:vgprValuB_X0_I0+4+0+0+1], v[88:89], a[88:95]
 // Ci += -Ai*Br
/*  mfmaIndex:70  */
_buffer_load_b128 v[vgprG2LA+16:vgprG2LA+16+3], v[vgprGlobalReadOffsetA+0], s[sgprSrdA:sgprSrdA+3], s[sgprScalarGlobalReadOffsetA+3], offen offset:0 // G -> Reg 0_0_4_0
v_mfma_f64_16x16x4f64 a[40+0:47+0], v[vgprValuB_X0_I0+4+0+0+2:vgprValuB_X0_I0+4+0+0+2+1], v[88:89], a[40:47]
 // Cr += -Ai*Bi
/*  mfmaIndex:71  */

/* local read swap offsets a */

/* local read swap offsets b */

/* local read init pointers a */

/* localReadInitPointers */

/* local read init pointers b */

/* localReadInitPointers */
v_mfma_f64_16x16x4f64 a[88+0:95+0], v[vgprValuB_X0_I0+4+0+0+2:vgprValuB_X0_I0+4+0+0+2+1], v[90:91], a[88:95]
 // Ci += -Ar*Bi
/* numPrefetchIter=0 */
/* dataAtIterA=1 numReadsIterA=3 skipReadsIterA=1 readsPerIterA=3 */
/* dataAtIterB=1 numReadsIterB=3 skipReadsIterB=1 readsPerIterB=2 */


/* iter 3 (swap and reset local write pointers iteration)  */

/*  grEndMfmaIndex:4, lwStartMfmaIndex:59, lwEndMfmaIndex:84  */
/*  numMfmaForLR:9, barrierMfmaIndex:86, LocalWritePerMfma:0.375 */
/*  mfmaIndex:72  */
/* sched write - iter 3 writesPerItem=1 */
s_waitcnt vmcnt(0)                                 // lgkmcnt=-1 vmcnt=0wait for global read before writing to local
_ds_store_b128 v[vgprLocalWriteAddrA], v[vgprG2LA+20:vgprG2LA+20+3] offset:25600 // lwoA_0_0_5_0 = (0*LSCA)*(MT0I+PAD) + (5*LSPA) = 25600
s_waitcnt lgkmcnt(6)                               // lgkmcnt=0 vmcnt=-1wait for prior local read local write old=0, new=6 newLW=6 newLR=0
v_add_f64 v[88:89], -v[vgprValuA_X1_I0+0+0+0+2:vgprValuA_X1_I0+0+0+0+2+1], 0 // Ai=-Ai
v_add_f64 v[90:91], -v[vgprValuA_X1_I0+0+0+0:vgprValuA_X1_I0+0+0+0+1], 0 // Ar=-Ar
v_mfma_f64_16x16x4f64 a[0+0:7+0], v[vgprValuB_X1_I0+0+0+0:vgprValuB_X1_I0+0+0+0+1], v[vgprValuA_X1_I0+0+0+0:vgprValuA_X1_I0+0+0+0+1], a[0:7]
 // Cr += Ar*Br
/*  mfmaIndex:73  */
_buffer_load_b128 v[vgprG2LA+20:vgprG2LA+20+3], v[vgprGlobalReadOffsetA+0], s[sgprSrdA:sgprSrdA+3], s[sgprScalarGlobalReadOffsetA+4], offen offset:0 // G -> Reg 0_0_5_0
v_mfma_f64_16x16x4f64 a[48+0:55+0], v[vgprValuB_X1_I0+0+0+0:vgprValuB_X1_I0+0+0+0+1], v[88:89], a[48:55]
 // Ci += -Ai*Br
/*  mfmaIndex:74  */
v_mfma_f64_16x16x4f64 a[0+0:7+0], v[vgprValuB_X1_I0+0+0+0+2:vgprValuB_X1_I0+0+0+0+2+1], v[88:89], a[0:7]
 // Cr += -Ai*Bi
/*  mfmaIndex:75  */
/* sched write - iter 3 writesPerItem=1 */
s_waitcnt vmcnt(0)                                 // lgkmcnt=-1 vmcnt=0wait for global read before writing to local
_ds_store_b128 v[vgprLocalWriteAddrB], v[vgprG2LB+0:vgprG2LB+0+3] offset:0 // lwoB_0_0_0_0 = (0*LSCB) + (0*LSPB)(*MT1J+PAD) = 0
v_mfma_f64_16x16x4f64 a[48+0:55+0], v[vgprValuB_X1_I0+0+0+0+2:vgprValuB_X1_I0+0+0+0+2+1], v[90:91], a[48:55]
 // Ci += -Ar*Bi
/*  mfmaIndex:76  */
_buffer_load_b128 v[vgprG2LB+0:vgprG2LB+0+3], v[vgprGlobalReadOffsetB+0], s[sgprSrdB:sgprSrdB+3], 0, offen offset:0 // G -> Reg 0_0_0_0
v_mfma_f64_16x16x4f64 a[24+0:31+0], v[vgprValuB_X1_I0+4+0+0:vgprValuB_X1_I0+4+0+0+1], v[vgprValuA_X1_I0+0+0+0:vgprValuA_X1_I0+0+0+0+1], a[24:31]
 // Cr += Ar*Br
/*  mfmaIndex:77  */
/* sched write - iter 3 writesPerItem=1 */
s_waitcnt vmcnt(0)                                 // lgkmcnt=-1 vmcnt=0wait for global read before writing to local
_ds_store_b128 v[vgprLocalWriteAddrB], v[vgprG2LB+4:vgprG2LB+4+3] offset:4096 // lwoB_0_0_1_0 = (0*LSCB) + (1*LSPB)(*MT1J+PAD) = 4096
v_mfma_f64_16x16x4f64 a[72+0:79+0], v[vgprValuB_X1_I0+4+0+0:vgprValuB_X1_I0+4+0+0+1], v[88:89], a[72:79]
 // Ci += -Ai*Br
/*  mfmaIndex:78  */
_buffer_load_b128 v[vgprG2LB+4:vgprG2LB+4+3], v[vgprGlobalReadOffsetB+0], s[sgprSrdB:sgprSrdB+3], s[sgprScalarGlobalReadOffsetB+0], offen offset:0 // G -> Reg 0_0_1_0
v_mfma_f64_16x16x4f64 a[24+0:31+0], v[vgprValuB_X1_I0+4+0+0+2:vgprValuB_X1_I0+4+0+0+2+1], v[88:89], a[24:31]
 // Cr += -Ai*Bi
/*  mfmaIndex:79  */
v_mfma_f64_16x16x4f64 a[72+0:79+0], v[vgprValuB_X1_I0+4+0+0+2:vgprValuB_X1_I0+4+0+0+2+1], v[90:91], a[72:79]
 // Ci += -Ar*Bi
/*  mfmaIndex:80  */
/* sched write - iter 3 writesPerItem=1 */
s_waitcnt vmcnt(0)                                 // lgkmcnt=-1 vmcnt=0wait for global read before writing to local
_ds_store_b128 v[vgprLocalWriteAddrB], v[vgprG2LB+8:vgprG2LB+8+3] offset:8192 // lwoB_0_0_2_0 = (0*LSCB) + (2*LSPB)(*MT1J+PAD) = 8192
v_add_f64 v[88:89], -v[vgprValuA_X1_I0+4+0+0+2:vgprValuA_X1_I0+4+0+0+2+1], 0 // Ai=-Ai
v_add_f64 v[90:91], -v[vgprValuA_X1_I0+4+0+0:vgprValuA_X1_I0+4+0+0+1], 0 // Ar=-Ar
v_mfma_f64_16x16x4f64 a[8+0:15+0], v[vgprValuB_X1_I0+0+0+0:vgprValuB_X1_I0+0+0+0+1], v[vgprValuA_X1_I0+4+0+0:vgprValuA_X1_I0+4+0+0+1], a[8:15]
 // Cr += Ar*Br
/*  mfmaIndex:81  */
_buffer_load_b128 v[vgprG2LB+8:vgprG2LB+8+3], v[vgprGlobalReadOffsetB+0], s[sgprSrdB:sgprSrdB+3], s[sgprScalarGlobalReadOffsetB+1], offen offset:0 // G -> Reg 0_0_2_0
v_mfma_f64_16x16x4f64 a[56+0:63+0], v[vgprValuB_X1_I0+0+0+0:vgprValuB_X1_I0+0+0+0+1], v[88:89], a[56:63]
 // Ci += -Ai*Br
/*  mfmaIndex:82  */
v_mfma_f64_16x16x4f64 a[8+0:15+0], v[vgprValuB_X1_I0+0+0+0+2:vgprValuB_X1_I0+0+0+0+2+1], v[88:89], a[8:15]
 // Cr += -Ai*Bi
/*  mfmaIndex:83  */
/* sched write - iter 3 writesPerItem=1 */
s_waitcnt vmcnt(0)                                 // lgkmcnt=-1 vmcnt=0wait for global read before writing to local
_ds_store_b128 v[vgprLocalWriteAddrB], v[vgprG2LB+12:vgprG2LB+12+3] offset:12288 // lwoB_0_0_3_0 = (0*LSCB) + (3*LSPB)(*MT1J+PAD) = 12288
v_mfma_f64_16x16x4f64 a[56+0:63+0], v[vgprValuB_X1_I0+0+0+0+2:vgprValuB_X1_I0+0+0+0+2+1], v[90:91], a[56:63]
 // Ci += -Ar*Bi
/*  mfmaIndex:84  */
_buffer_load_b128 v[vgprG2LB+12:vgprG2LB+12+3], v[vgprGlobalReadOffsetB+0], s[sgprSrdB:sgprSrdB+3], s[sgprScalarGlobalReadOffsetB+2], offen offset:0 // G -> Reg 0_0_3_0

/* local write swap offsets a */

/* local write swap offsets b */
v_mfma_f64_16x16x4f64 a[32+0:39+0], v[vgprValuB_X1_I0+4+0+0:vgprValuB_X1_I0+4+0+0+1], v[vgprValuA_X1_I0+4+0+0:vgprValuA_X1_I0+4+0+0+1], a[32:39]
 // Cr += Ar*Br
/*  mfmaIndex:85  */
v_mfma_f64_16x16x4f64 a[80+0:87+0], v[vgprValuB_X1_I0+4+0+0:vgprValuB_X1_I0+4+0+0+1], v[88:89], a[80:87]
 // Ci += -Ai*Br
s_setprio 0                                        // store optimization
/*  mfmaIndex:86  */
s_waitcnt lgkmcnt(0)                               // lgkmcnt=0 vmcnt=-13wait for local write
// Skip force waitcnt0
s_barrier //
v_mfma_f64_16x16x4f64 a[32+0:39+0], v[vgprValuB_X1_I0+4+0+0+2:vgprValuB_X1_I0+4+0+0+2+1], v[88:89], a[32:39]
 // Cr += -Ai*Bi
/*  mfmaIndex:87  */
s_setprio 3                                        // store optimization
_ds_load_b128 v[vgprValuA_X0_I0+0:vgprValuA_X0_I0+0+3], v[vgprLocalReadAddrA] offset:0 // L -> Reg lro=0 swapByteOffset=0 ti=32 vIdx=0 rIdx=0 oIdx=0 buffer=0 iui=0
v_mfma_f64_16x16x4f64 a[80+0:87+0], v[vgprValuB_X1_I0+4+0+0+2:vgprValuB_X1_I0+4+0+0+2+1], v[90:91], a[80:87]
 // Ci += -Ar*Bi
/*  mfmaIndex:88  */
_ds_load_b128 v[vgprValuB_X0_I0+0:vgprValuB_X0_I0+0+3], v[vgprLocalReadAddrB] offset:0 // L -> Reg lro=0 swapByteOffset=0 ti=32 vIdx=0 rIdx=0 oIdx=0 buffer=0 iui=0
v_add_f64 v[88:89], -v[vgprValuA_X1_I0+8+0+0+2:vgprValuA_X1_I0+8+0+0+2+1], 0 // Ai=-Ai
v_add_f64 v[90:91], -v[vgprValuA_X1_I0+8+0+0:vgprValuA_X1_I0+8+0+0+1], 0 // Ar=-Ar
v_mfma_f64_16x16x4f64 a[16+0:23+0], v[vgprValuB_X1_I0+0+0+0:vgprValuB_X1_I0+0+0+0+1], v[vgprValuA_X1_I0+8+0+0:vgprValuA_X1_I0+8+0+0+1], a[16:23]
 // Cr += Ar*Br
/*  mfmaIndex:89  */
_ds_load_b128 v[vgprValuA_X0_I0+4:vgprValuA_X0_I0+4+3], v[vgprLocalReadAddrA] offset:10240 // L -> Reg lro=0 swapByteOffset=0 ti=32 vIdx=1 rIdx=0 oIdx=0 buffer=0 iui=0
v_mfma_f64_16x16x4f64 a[64+0:71+0], v[vgprValuB_X1_I0+0+0+0:vgprValuB_X1_I0+0+0+0+1], v[88:89], a[64:71]
 // Ci += -Ai*Br
/*  mfmaIndex:90  */
_ds_load_b128 v[vgprValuA_X0_I0+8:vgprValuA_X0_I0+8+3], v[vgprLocalReadAddrA] offset:20480 // L -> Reg lro=0 swapByteOffset=0 ti=32 vIdx=2 rIdx=0 oIdx=0 buffer=0 iui=0
v_mfma_f64_16x16x4f64 a[16+0:23+0], v[vgprValuB_X1_I0+0+0+0+2:vgprValuB_X1_I0+0+0+0+2+1], v[88:89], a[16:23]
 // Cr += -Ai*Bi
/*  mfmaIndex:91  */
_ds_load_b128 v[vgprValuB_X0_I0+4:vgprValuB_X0_I0+4+3], v[vgprLocalReadAddrB] offset:512 // L -> Reg lro=0 swapByteOffset=0 ti=32 vIdx=1 rIdx=0 oIdx=0 buffer=0 iui=0
v_mfma_f64_16x16x4f64 a[64+0:71+0], v[vgprValuB_X1_I0+0+0+0+2:vgprValuB_X1_I0+0+0+0+2+1], v[90:91], a[64:71]
 // Ci += -Ar*Bi
/*  mfmaIndex:92  */
v_mfma_f64_16x16x4f64 a[40+0:47+0], v[vgprValuB_X1_I0+4+0+0:vgprValuB_X1_I0+4+0+0+1], v[vgprValuA_X1_I0+8+0+0:vgprValuA_X1_I0+8+0+0+1], a[40:47]
 // Cr += Ar*Br
/*  mfmaIndex:93  */
v_mfma_f64_16x16x4f64 a[88+0:95+0], v[vgprValuB_X1_I0+4+0+0:vgprValuB_X1_I0+4+0+0+1], v[88:89], a[88:95]
 // Ci += -Ai*Br
/*  mfmaIndex:94  */
v_mfma_f64_16x16x4f64 a[40+0:47+0], v[vgprValuB_X1_I0+4+0+0+2:vgprValuB_X1_I0+4+0+0+2+1], v[88:89], a[40:47]
 // Cr += -Ai*Bi
/*  mfmaIndex:95  */
v_mfma_f64_16x16x4f64 a[88+0:95+0], v[vgprValuB_X1_I0+4+0+0+2:vgprValuB_X1_I0+4+0+0+2+1], v[90:91], a[88:95]
 // Ci += -Ar*Bi
s_setprio 0                                        // store optimization
/* numPrefetchIter=1 */
/* dataAtIterA=2 numReadsIterA=3 skipReadsIterA=1 readsPerIterA=3 */
/* dataAtIterB=2 numReadsIterB=3 skipReadsIterB=1 readsPerIterB=2 */


/******************************************/
/* Unrolled Loop - End 1/2                */
/******************************************/


/* closeLoop loopL finalLoop=0 tailLoop=0 */
s_sub_u32 s[sgprLoopCounterL], s[sgprLoopCounterL], 1 // dec counterL
s_cmp_eq_i32 s[sgprLoopCounterL], 0x2              // counterL==2
s_cbranch_scc1 LoopEndL_oddexit_3                  // exit LoopL


/******************************************/
/* Unrolled Loop 2/2 - Begin              */
/******************************************/

label_0016: // LoopCopy2 


/* Begin Each Unroll: Check VGPR.checkin for INT8 LW */


	;; [unrolled: 1-line block ×3, first 2 shown]
/* iter 0 */

/*  grEndMfmaIndex:4, lwStartMfmaIndex:59, lwEndMfmaIndex:84  */
/*  numMfmaForLR:9, barrierMfmaIndex:86, LocalWritePerMfma:0.375 */
/*  mfmaIndex:0  */
s_waitcnt lgkmcnt(0)                               // lgkmcnt=0 vmcnt=-1wait for prior local read local write old=0, new=0 newLW=0 newLR=0
v_add_f64 v[88:89], -v[vgprValuA_X0_I0+0+0+0+2:vgprValuA_X0_I0+0+0+0+2+1], 0 // Ai=-Ai
v_add_f64 v[90:91], -v[vgprValuA_X0_I0+0+0+0:vgprValuA_X0_I0+0+0+0+1], 0 // Ar=-Ar
v_mfma_f64_16x16x4f64 a[0+0:7+0], v[vgprValuB_X0_I0+0+0+0:vgprValuB_X0_I0+0+0+0+1], v[vgprValuA_X0_I0+0+0+0:vgprValuA_X0_I0+0+0+0+1], a[0:7]
 // Cr += Ar*Br
/*  mfmaIndex:1  */
_ds_load_b128 v[vgprValuA_X1_I0+0:vgprValuA_X1_I0+0+3], v[vgprLocalReadAddrA] offset:64 // L -> Reg lro=4 swapByteOffset=0 ti=32 vIdx=0 rIdx=0 oIdx=0 buffer=1 iui=0

/* global read inc A loopL */
s_add_u32 s[sgprSrdA+0], s[sgprSrdA+0], s[sgprGlobalReadIncsA+0] // gra SRD += inc(lower)
s_addc_u32  s[sgprSrdA+1], s[sgprSrdA+1], 0        // gra SRD += inc(upper)
s_sub_u32 s[sgprShadowLimitA+0], s[sgprShadowLimitA+0], s[sgprGlobalReadIncsA+0] // limit -= inc)
v_mfma_f64_16x16x4f64 a[48+0:55+0], v[vgprValuB_X0_I0+0+0+0:vgprValuB_X0_I0+0+0+0+1], v[88:89], a[48:55]
 // Ci += -Ai*Br
/*  mfmaIndex:2  */
_ds_load_b128 v[vgprValuB_X1_I0+0:vgprValuB_X1_I0+0+3], v[vgprLocalReadAddrB] offset:4096 // L -> Reg lro=256 swapByteOffset=0 ti=32 vIdx=0 rIdx=0 oIdx=0 buffer=1 iui=0
s_subb_u32 s[sgprShadowLimitA+1], s[sgprShadowLimitA+1], 0 // limit -= inc)
s_cmp_eq_u32 s[sgprShadowLimitA+1], 0              // are we within 2^32?
s_cmov_b32 s[sgprSrdA+2], s[sgprShadowLimitA+0]    // Move shadow to real if we are within 2^32
v_mfma_f64_16x16x4f64 a[0+0:7+0], v[vgprValuB_X0_I0+0+0+0+2:vgprValuB_X0_I0+0+0+0+2+1], v[88:89], a[0:7]
 // Cr += -Ai*Bi
/*  mfmaIndex:3  */
_ds_load_b128 v[vgprValuA_X1_I0+4:vgprValuA_X1_I0+4+3], v[vgprLocalReadAddrA] offset:10304 // L -> Reg lro=4 swapByteOffset=0 ti=32 vIdx=1 rIdx=0 oIdx=0 buffer=1 iui=0

/* global read inc B loopL */
s_add_u32 s[sgprSrdB+0], s[sgprSrdB+0], s[sgprGlobalReadIncsB+0] // gra SRD += inc(lower)
s_addc_u32  s[sgprSrdB+1], s[sgprSrdB+1], 0        // gra SRD += inc(upper)
s_sub_u32 s[sgprShadowLimitB+0], s[sgprShadowLimitB+0], s[sgprGlobalReadIncsB+0] // limit -= inc)
v_mfma_f64_16x16x4f64 a[48+0:55+0], v[vgprValuB_X0_I0+0+0+0+2:vgprValuB_X0_I0+0+0+0+2+1], v[90:91], a[48:55]
 // Ci += -Ar*Bi
/*  mfmaIndex:4  */
_ds_load_b128 v[vgprValuA_X1_I0+8:vgprValuA_X1_I0+8+3], v[vgprLocalReadAddrA] offset:20544 // L -> Reg lro=4 swapByteOffset=0 ti=32 vIdx=2 rIdx=0 oIdx=0 buffer=1 iui=0
s_subb_u32 s[sgprShadowLimitB+1], s[sgprShadowLimitB+1], 0 // limit -= inc)
s_cmp_eq_u32 s[sgprShadowLimitB+1], 0              // are we within 2^32?
s_cmov_b32 s[sgprSrdB+2], s[sgprShadowLimitB+0]    // Move shadow to real if we are within 2^32
v_mfma_f64_16x16x4f64 a[24+0:31+0], v[vgprValuB_X0_I0+4+0+0:vgprValuB_X0_I0+4+0+0+1], v[vgprValuA_X0_I0+0+0+0:vgprValuA_X0_I0+0+0+0+1], a[24:31]
 // Cr += Ar*Br
/*  mfmaIndex:5  */
_ds_load_b128 v[vgprValuB_X1_I0+4:vgprValuB_X1_I0+4+3], v[vgprLocalReadAddrB] offset:4608 // L -> Reg lro=256 swapByteOffset=0 ti=32 vIdx=1 rIdx=0 oIdx=0 buffer=1 iui=0
/* localReadsVacancy: latencyLeft 1 */
v_mfma_f64_16x16x4f64 a[72+0:79+0], v[vgprValuB_X0_I0+4+0+0:vgprValuB_X0_I0+4+0+0+1], v[88:89], a[72:79]
 // Ci += -Ai*Br
/*  mfmaIndex:6  */
/* localReadsVacancy: latencyLeft 5 */
v_mfma_f64_16x16x4f64 a[24+0:31+0], v[vgprValuB_X0_I0+4+0+0+2:vgprValuB_X0_I0+4+0+0+2+1], v[88:89], a[24:31]
 // Cr += -Ai*Bi
/*  mfmaIndex:7  */
/* localReadsVacancy: latencyLeft 5 */
v_mfma_f64_16x16x4f64 a[72+0:79+0], v[vgprValuB_X0_I0+4+0+0+2:vgprValuB_X0_I0+4+0+0+2+1], v[90:91], a[72:79]
 // Ci += -Ar*Bi
/*  mfmaIndex:8  */
/* localReadsVacancy: latencyLeft 5 */
v_add_f64 v[88:89], -v[vgprValuA_X0_I0+4+0+0+2:vgprValuA_X0_I0+4+0+0+2+1], 0 // Ai=-Ai
v_add_f64 v[90:91], -v[vgprValuA_X0_I0+4+0+0:vgprValuA_X0_I0+4+0+0+1], 0 // Ar=-Ar
v_mfma_f64_16x16x4f64 a[8+0:15+0], v[vgprValuB_X0_I0+0+0+0:vgprValuB_X0_I0+0+0+0+1], v[vgprValuA_X0_I0+4+0+0:vgprValuA_X0_I0+4+0+0+1], a[8:15]
 // Cr += Ar*Br
/*  mfmaIndex:9  */
/* localReadsVacancy: latencyLeft 5 */
v_mfma_f64_16x16x4f64 a[56+0:63+0], v[vgprValuB_X0_I0+0+0+0:vgprValuB_X0_I0+0+0+0+1], v[88:89], a[56:63]
 // Ci += -Ai*Br
/*  mfmaIndex:10  */
/* localReadsVacancy: latencyLeft 5 */
v_mfma_f64_16x16x4f64 a[8+0:15+0], v[vgprValuB_X0_I0+0+0+0+2:vgprValuB_X0_I0+0+0+0+2+1], v[88:89], a[8:15]
 // Cr += -Ai*Bi
/*  mfmaIndex:11  */
/* localReadsVacancy: latencyLeft 5 */
v_mfma_f64_16x16x4f64 a[56+0:63+0], v[vgprValuB_X0_I0+0+0+0+2:vgprValuB_X0_I0+0+0+0+2+1], v[90:91], a[56:63]
 // Ci += -Ar*Bi
/*  mfmaIndex:12  */
/* localReadsVacancy: latencyLeft 5 */
v_mfma_f64_16x16x4f64 a[32+0:39+0], v[vgprValuB_X0_I0+4+0+0:vgprValuB_X0_I0+4+0+0+1], v[vgprValuA_X0_I0+4+0+0:vgprValuA_X0_I0+4+0+0+1], a[32:39]
 // Cr += Ar*Br
/*  mfmaIndex:13  */
/* localReadsVacancy: latencyLeft 5 */
v_mfma_f64_16x16x4f64 a[80+0:87+0], v[vgprValuB_X0_I0+4+0+0:vgprValuB_X0_I0+4+0+0+1], v[88:89], a[80:87]
 // Ci += -Ai*Br
/*  mfmaIndex:14  */
/* localReadsVacancy: latencyLeft 5 */
v_mfma_f64_16x16x4f64 a[32+0:39+0], v[vgprValuB_X0_I0+4+0+0+2:vgprValuB_X0_I0+4+0+0+2+1], v[88:89], a[32:39]
 // Cr += -Ai*Bi
/*  mfmaIndex:15  */
/* localReadsVacancy: latencyLeft 5 */
v_mfma_f64_16x16x4f64 a[80+0:87+0], v[vgprValuB_X0_I0+4+0+0+2:vgprValuB_X0_I0+4+0+0+2+1], v[90:91], a[80:87]
 // Ci += -Ar*Bi
/*  mfmaIndex:16  */
/* localReadsVacancy: latencyLeft 5 */
v_add_f64 v[88:89], -v[vgprValuA_X0_I0+8+0+0+2:vgprValuA_X0_I0+8+0+0+2+1], 0 // Ai=-Ai
v_add_f64 v[90:91], -v[vgprValuA_X0_I0+8+0+0:vgprValuA_X0_I0+8+0+0+1], 0 // Ar=-Ar
v_mfma_f64_16x16x4f64 a[16+0:23+0], v[vgprValuB_X0_I0+0+0+0:vgprValuB_X0_I0+0+0+0+1], v[vgprValuA_X0_I0+8+0+0:vgprValuA_X0_I0+8+0+0+1], a[16:23]
 // Cr += Ar*Br
/*  mfmaIndex:17  */
/* localReadsVacancy: latencyLeft 5 */
v_mfma_f64_16x16x4f64 a[64+0:71+0], v[vgprValuB_X0_I0+0+0+0:vgprValuB_X0_I0+0+0+0+1], v[88:89], a[64:71]
 // Ci += -Ai*Br
/*  mfmaIndex:18  */
/* localReadsVacancy: latencyLeft 5 */
v_mfma_f64_16x16x4f64 a[16+0:23+0], v[vgprValuB_X0_I0+0+0+0+2:vgprValuB_X0_I0+0+0+0+2+1], v[88:89], a[16:23]
 // Cr += -Ai*Bi
/*  mfmaIndex:19  */
/* localReadsVacancy: latencyLeft 5 */
v_mfma_f64_16x16x4f64 a[64+0:71+0], v[vgprValuB_X0_I0+0+0+0+2:vgprValuB_X0_I0+0+0+0+2+1], v[90:91], a[64:71]
 // Ci += -Ar*Bi
/*  mfmaIndex:20  */
/* localReadsVacancy: latencyLeft 5 */
v_mfma_f64_16x16x4f64 a[40+0:47+0], v[vgprValuB_X0_I0+4+0+0:vgprValuB_X0_I0+4+0+0+1], v[vgprValuA_X0_I0+8+0+0:vgprValuA_X0_I0+8+0+0+1], a[40:47]
 // Cr += Ar*Br
/*  mfmaIndex:21  */
/* localReadsVacancy: latencyLeft 5 */
v_mfma_f64_16x16x4f64 a[88+0:95+0], v[vgprValuB_X0_I0+4+0+0:vgprValuB_X0_I0+4+0+0+1], v[88:89], a[88:95]
 // Ci += -Ai*Br
/*  mfmaIndex:22  */
/* localReadsVacancy: latencyLeft 5 */
v_mfma_f64_16x16x4f64 a[40+0:47+0], v[vgprValuB_X0_I0+4+0+0+2:vgprValuB_X0_I0+4+0+0+2+1], v[88:89], a[40:47]
 // Cr += -Ai*Bi
/*  mfmaIndex:23  */
/* localReadsVacancy: latencyLeft 5 */
v_mfma_f64_16x16x4f64 a[88+0:95+0], v[vgprValuB_X0_I0+4+0+0+2:vgprValuB_X0_I0+4+0+0+2+1], v[90:91], a[88:95]
 // Ci += -Ar*Bi
/* numPrefetchIter=0 */
/* dataAtIterA=-1 numReadsIterA=1 skipReadsIterA=1 readsPerIterA=3 */
/* dataAtIterB=-1 numReadsIterB=1 skipReadsIterB=1 readsPerIterB=2 */


/* iter 1 */

/*  grEndMfmaIndex:4, lwStartMfmaIndex:59, lwEndMfmaIndex:84  */
/*  numMfmaForLR:9, barrierMfmaIndex:86, LocalWritePerMfma:0.375 */
/*  mfmaIndex:24  */
_ds_load_b128 v[vgprValuA_X0_I0+0:vgprValuA_X0_I0+0+3], v[vgprLocalReadAddrA] offset:128 // L -> Reg lro=8 swapByteOffset=0 ti=32 vIdx=0 rIdx=0 oIdx=0 buffer=0 iui=0
s_waitcnt lgkmcnt(1)                               // lgkmcnt=0 vmcnt=-1wait for prior local read local write old=0, new=1 newLW=0 newLR=1
v_add_f64 v[88:89], -v[vgprValuA_X1_I0+0+0+0+2:vgprValuA_X1_I0+0+0+0+2+1], 0 // Ai=-Ai
v_add_f64 v[90:91], -v[vgprValuA_X1_I0+0+0+0:vgprValuA_X1_I0+0+0+0+1], 0 // Ar=-Ar
v_mfma_f64_16x16x4f64 a[0+0:7+0], v[vgprValuB_X1_I0+0+0+0:vgprValuB_X1_I0+0+0+0+1], v[vgprValuA_X1_I0+0+0+0:vgprValuA_X1_I0+0+0+0+1], a[0:7]
 // Cr += Ar*Br
/*  mfmaIndex:25  */
_ds_load_b128 v[vgprValuB_X0_I0+0:vgprValuB_X0_I0+0+3], v[vgprLocalReadAddrB] offset:8192 // L -> Reg lro=512 swapByteOffset=0 ti=32 vIdx=0 rIdx=0 oIdx=0 buffer=0 iui=0
v_mfma_f64_16x16x4f64 a[48+0:55+0], v[vgprValuB_X1_I0+0+0+0:vgprValuB_X1_I0+0+0+0+1], v[88:89], a[48:55]
 // Ci += -Ai*Br
/*  mfmaIndex:26  */
_ds_load_b128 v[vgprValuA_X0_I0+4:vgprValuA_X0_I0+4+3], v[vgprLocalReadAddrA] offset:10368 // L -> Reg lro=8 swapByteOffset=0 ti=32 vIdx=1 rIdx=0 oIdx=0 buffer=0 iui=0
v_mfma_f64_16x16x4f64 a[0+0:7+0], v[vgprValuB_X1_I0+0+0+0+2:vgprValuB_X1_I0+0+0+0+2+1], v[88:89], a[0:7]
 // Cr += -Ai*Bi
/*  mfmaIndex:27  */
_ds_load_b128 v[vgprValuA_X0_I0+8:vgprValuA_X0_I0+8+3], v[vgprLocalReadAddrA] offset:20608 // L -> Reg lro=8 swapByteOffset=0 ti=32 vIdx=2 rIdx=0 oIdx=0 buffer=0 iui=0
v_mfma_f64_16x16x4f64 a[48+0:55+0], v[vgprValuB_X1_I0+0+0+0+2:vgprValuB_X1_I0+0+0+0+2+1], v[90:91], a[48:55]
 // Ci += -Ar*Bi
/*  mfmaIndex:28  */
_ds_load_b128 v[vgprValuB_X0_I0+4:vgprValuB_X0_I0+4+3], v[vgprLocalReadAddrB] offset:8704 // L -> Reg lro=512 swapByteOffset=0 ti=32 vIdx=1 rIdx=0 oIdx=0 buffer=0 iui=0
/* localReadsVacancy: latencyLeft 1 */
v_mfma_f64_16x16x4f64 a[24+0:31+0], v[vgprValuB_X1_I0+4+0+0:vgprValuB_X1_I0+4+0+0+1], v[vgprValuA_X1_I0+0+0+0:vgprValuA_X1_I0+0+0+0+1], a[24:31]
 // Cr += Ar*Br
/*  mfmaIndex:29  */
/* localReadsVacancy: latencyLeft 5 */
v_mfma_f64_16x16x4f64 a[72+0:79+0], v[vgprValuB_X1_I0+4+0+0:vgprValuB_X1_I0+4+0+0+1], v[88:89], a[72:79]
 // Ci += -Ai*Br
/*  mfmaIndex:30  */
/* localReadsVacancy: latencyLeft 5 */
v_mfma_f64_16x16x4f64 a[24+0:31+0], v[vgprValuB_X1_I0+4+0+0+2:vgprValuB_X1_I0+4+0+0+2+1], v[88:89], a[24:31]
 // Cr += -Ai*Bi
/*  mfmaIndex:31  */
/* localReadsVacancy: latencyLeft 5 */
v_mfma_f64_16x16x4f64 a[72+0:79+0], v[vgprValuB_X1_I0+4+0+0+2:vgprValuB_X1_I0+4+0+0+2+1], v[90:91], a[72:79]
 // Ci += -Ar*Bi
/*  mfmaIndex:32  */
/* localReadsVacancy: latencyLeft 5 */
v_add_f64 v[88:89], -v[vgprValuA_X1_I0+4+0+0+2:vgprValuA_X1_I0+4+0+0+2+1], 0 // Ai=-Ai
v_add_f64 v[90:91], -v[vgprValuA_X1_I0+4+0+0:vgprValuA_X1_I0+4+0+0+1], 0 // Ar=-Ar
v_mfma_f64_16x16x4f64 a[8+0:15+0], v[vgprValuB_X1_I0+0+0+0:vgprValuB_X1_I0+0+0+0+1], v[vgprValuA_X1_I0+4+0+0:vgprValuA_X1_I0+4+0+0+1], a[8:15]
 // Cr += Ar*Br
/*  mfmaIndex:33  */
/* localReadsVacancy: latencyLeft 5 */
v_mfma_f64_16x16x4f64 a[56+0:63+0], v[vgprValuB_X1_I0+0+0+0:vgprValuB_X1_I0+0+0+0+1], v[88:89], a[56:63]
 // Ci += -Ai*Br
/*  mfmaIndex:34  */
/* localReadsVacancy: latencyLeft 5 */
v_mfma_f64_16x16x4f64 a[8+0:15+0], v[vgprValuB_X1_I0+0+0+0+2:vgprValuB_X1_I0+0+0+0+2+1], v[88:89], a[8:15]
 // Cr += -Ai*Bi
/*  mfmaIndex:35  */
/* localReadsVacancy: latencyLeft 5 */
v_mfma_f64_16x16x4f64 a[56+0:63+0], v[vgprValuB_X1_I0+0+0+0+2:vgprValuB_X1_I0+0+0+0+2+1], v[90:91], a[56:63]
 // Ci += -Ar*Bi
/*  mfmaIndex:36  */
/* localReadsVacancy: latencyLeft 5 */
v_mfma_f64_16x16x4f64 a[32+0:39+0], v[vgprValuB_X1_I0+4+0+0:vgprValuB_X1_I0+4+0+0+1], v[vgprValuA_X1_I0+4+0+0:vgprValuA_X1_I0+4+0+0+1], a[32:39]
 // Cr += Ar*Br
/*  mfmaIndex:37  */
/* localReadsVacancy: latencyLeft 5 */
v_mfma_f64_16x16x4f64 a[80+0:87+0], v[vgprValuB_X1_I0+4+0+0:vgprValuB_X1_I0+4+0+0+1], v[88:89], a[80:87]
 // Ci += -Ai*Br
/*  mfmaIndex:38  */
/* localReadsVacancy: latencyLeft 5 */
v_mfma_f64_16x16x4f64 a[32+0:39+0], v[vgprValuB_X1_I0+4+0+0+2:vgprValuB_X1_I0+4+0+0+2+1], v[88:89], a[32:39]
 // Cr += -Ai*Bi
/*  mfmaIndex:39  */
/* localReadsVacancy: latencyLeft 5 */
v_mfma_f64_16x16x4f64 a[80+0:87+0], v[vgprValuB_X1_I0+4+0+0+2:vgprValuB_X1_I0+4+0+0+2+1], v[90:91], a[80:87]
 // Ci += -Ar*Bi
/*  mfmaIndex:40  */
/* localReadsVacancy: latencyLeft 5 */
v_add_f64 v[88:89], -v[vgprValuA_X1_I0+8+0+0+2:vgprValuA_X1_I0+8+0+0+2+1], 0 // Ai=-Ai
v_add_f64 v[90:91], -v[vgprValuA_X1_I0+8+0+0:vgprValuA_X1_I0+8+0+0+1], 0 // Ar=-Ar
v_mfma_f64_16x16x4f64 a[16+0:23+0], v[vgprValuB_X1_I0+0+0+0:vgprValuB_X1_I0+0+0+0+1], v[vgprValuA_X1_I0+8+0+0:vgprValuA_X1_I0+8+0+0+1], a[16:23]
 // Cr += Ar*Br
/*  mfmaIndex:41  */
/* localReadsVacancy: latencyLeft 5 */
v_mfma_f64_16x16x4f64 a[64+0:71+0], v[vgprValuB_X1_I0+0+0+0:vgprValuB_X1_I0+0+0+0+1], v[88:89], a[64:71]
 // Ci += -Ai*Br
/*  mfmaIndex:42  */
/* localReadsVacancy: latencyLeft 5 */
v_mfma_f64_16x16x4f64 a[16+0:23+0], v[vgprValuB_X1_I0+0+0+0+2:vgprValuB_X1_I0+0+0+0+2+1], v[88:89], a[16:23]
 // Cr += -Ai*Bi
/*  mfmaIndex:43  */
/* localReadsVacancy: latencyLeft 5 */
v_mfma_f64_16x16x4f64 a[64+0:71+0], v[vgprValuB_X1_I0+0+0+0+2:vgprValuB_X1_I0+0+0+0+2+1], v[90:91], a[64:71]
 // Ci += -Ar*Bi
/*  mfmaIndex:44  */
/* localReadsVacancy: latencyLeft 5 */
v_mfma_f64_16x16x4f64 a[40+0:47+0], v[vgprValuB_X1_I0+4+0+0:vgprValuB_X1_I0+4+0+0+1], v[vgprValuA_X1_I0+8+0+0:vgprValuA_X1_I0+8+0+0+1], a[40:47]
 // Cr += Ar*Br
/*  mfmaIndex:45  */
/* localReadsVacancy: latencyLeft 5 */
v_mfma_f64_16x16x4f64 a[88+0:95+0], v[vgprValuB_X1_I0+4+0+0:vgprValuB_X1_I0+4+0+0+1], v[88:89], a[88:95]
 // Ci += -Ai*Br
/*  mfmaIndex:46  */
/* localReadsVacancy: latencyLeft 5 */
v_mfma_f64_16x16x4f64 a[40+0:47+0], v[vgprValuB_X1_I0+4+0+0+2:vgprValuB_X1_I0+4+0+0+2+1], v[88:89], a[40:47]
 // Cr += -Ai*Bi
/*  mfmaIndex:47  */
/* localReadsVacancy: latencyLeft 5 */
v_mfma_f64_16x16x4f64 a[88+0:95+0], v[vgprValuB_X1_I0+4+0+0+2:vgprValuB_X1_I0+4+0+0+2+1], v[90:91], a[88:95]
 // Ci += -Ar*Bi
/* numPrefetchIter=0 */
/* dataAtIterA=0 numReadsIterA=2 skipReadsIterA=1 readsPerIterA=3 */
/* dataAtIterB=0 numReadsIterB=2 skipReadsIterB=1 readsPerIterB=2 */


/* iter 2 (reset local read pointers iteration)  (swap local read pointers iteration)  */

/*  grEndMfmaIndex:4, lwStartMfmaIndex:59, lwEndMfmaIndex:84  */
/*  numMfmaForLR:9, barrierMfmaIndex:86, LocalWritePerMfma:0.375 */
/*  mfmaIndex:48  */
_ds_load_b128 v[vgprValuA_X1_I0+0:vgprValuA_X1_I0+0+3], v[vgprLocalReadAddrA] offset:192 // L -> Reg lro=12 swapByteOffset=0 ti=32 vIdx=0 rIdx=0 oIdx=0 buffer=1 iui=0
s_waitcnt lgkmcnt(1)                               // lgkmcnt=0 vmcnt=-1wait for prior local read local write old=0, new=1 newLW=0 newLR=1
v_add_f64 v[88:89], -v[vgprValuA_X0_I0+0+0+0+2:vgprValuA_X0_I0+0+0+0+2+1], 0 // Ai=-Ai
v_add_f64 v[90:91], -v[vgprValuA_X0_I0+0+0+0:vgprValuA_X0_I0+0+0+0+1], 0 // Ar=-Ar
v_mfma_f64_16x16x4f64 a[0+0:7+0], v[vgprValuB_X0_I0+0+0+0:vgprValuB_X0_I0+0+0+0+1], v[vgprValuA_X0_I0+0+0+0:vgprValuA_X0_I0+0+0+0+1], a[0:7]
 // Cr += Ar*Br
/*  mfmaIndex:49  */
_ds_load_b128 v[vgprValuB_X1_I0+0:vgprValuB_X1_I0+0+3], v[vgprLocalReadAddrB] offset:12288 // L -> Reg lro=768 swapByteOffset=0 ti=32 vIdx=0 rIdx=0 oIdx=0 buffer=1 iui=0
v_mfma_f64_16x16x4f64 a[48+0:55+0], v[vgprValuB_X0_I0+0+0+0:vgprValuB_X0_I0+0+0+0+1], v[88:89], a[48:55]
 // Ci += -Ai*Br
/*  mfmaIndex:50  */
_ds_load_b128 v[vgprValuA_X1_I0+4:vgprValuA_X1_I0+4+3], v[vgprLocalReadAddrA] offset:10432 // L -> Reg lro=12 swapByteOffset=0 ti=32 vIdx=1 rIdx=0 oIdx=0 buffer=1 iui=0
v_mfma_f64_16x16x4f64 a[0+0:7+0], v[vgprValuB_X0_I0+0+0+0+2:vgprValuB_X0_I0+0+0+0+2+1], v[88:89], a[0:7]
 // Cr += -Ai*Bi
/*  mfmaIndex:51  */
_ds_load_b128 v[vgprValuA_X1_I0+8:vgprValuA_X1_I0+8+3], v[vgprLocalReadAddrA] offset:20672 // L -> Reg lro=12 swapByteOffset=0 ti=32 vIdx=2 rIdx=0 oIdx=0 buffer=1 iui=0
v_mfma_f64_16x16x4f64 a[48+0:55+0], v[vgprValuB_X0_I0+0+0+0+2:vgprValuB_X0_I0+0+0+0+2+1], v[90:91], a[48:55]
 // Ci += -Ar*Bi
/*  mfmaIndex:52  */
_ds_load_b128 v[vgprValuB_X1_I0+4:vgprValuB_X1_I0+4+3], v[vgprLocalReadAddrB] offset:12800 // L -> Reg lro=768 swapByteOffset=0 ti=32 vIdx=1 rIdx=0 oIdx=0 buffer=1 iui=0
/* localReadsVacancy: latencyLeft 1 */
v_mfma_f64_16x16x4f64 a[24+0:31+0], v[vgprValuB_X0_I0+4+0+0:vgprValuB_X0_I0+4+0+0+1], v[vgprValuA_X0_I0+0+0+0:vgprValuA_X0_I0+0+0+0+1], a[24:31]
 // Cr += Ar*Br
/*  mfmaIndex:53  */
/* localReadsVacancy: latencyLeft 5 */
v_mfma_f64_16x16x4f64 a[72+0:79+0], v[vgprValuB_X0_I0+4+0+0:vgprValuB_X0_I0+4+0+0+1], v[88:89], a[72:79]
 // Ci += -Ai*Br
/*  mfmaIndex:54  */
/* localReadsVacancy: latencyLeft 5 */
v_mfma_f64_16x16x4f64 a[24+0:31+0], v[vgprValuB_X0_I0+4+0+0+2:vgprValuB_X0_I0+4+0+0+2+1], v[88:89], a[24:31]
 // Cr += -Ai*Bi
/*  mfmaIndex:55  */
/* localReadsVacancy: latencyLeft 5 */
v_mfma_f64_16x16x4f64 a[72+0:79+0], v[vgprValuB_X0_I0+4+0+0+2:vgprValuB_X0_I0+4+0+0+2+1], v[90:91], a[72:79]
 // Ci += -Ar*Bi
/*  mfmaIndex:56  */
/* localReadsVacancy: latencyLeft 5 */
v_add_f64 v[88:89], -v[vgprValuA_X0_I0+4+0+0+2:vgprValuA_X0_I0+4+0+0+2+1], 0 // Ai=-Ai
v_add_f64 v[90:91], -v[vgprValuA_X0_I0+4+0+0:vgprValuA_X0_I0+4+0+0+1], 0 // Ar=-Ar
v_mfma_f64_16x16x4f64 a[8+0:15+0], v[vgprValuB_X0_I0+0+0+0:vgprValuB_X0_I0+0+0+0+1], v[vgprValuA_X0_I0+4+0+0:vgprValuA_X0_I0+4+0+0+1], a[8:15]
 // Cr += Ar*Br
/*  mfmaIndex:57  */
/* localReadsVacancy: latencyLeft 5 */
v_mfma_f64_16x16x4f64 a[56+0:63+0], v[vgprValuB_X0_I0+0+0+0:vgprValuB_X0_I0+0+0+0+1], v[88:89], a[56:63]
 // Ci += -Ai*Br
/*  mfmaIndex:58  */
/* localReadsVacancy: latencyLeft 5 */
/* 1 LDS buffer: read-sync-write */
s_waitcnt lgkmcnt(0)                               // 
s_barrier                                          // 
v_mfma_f64_16x16x4f64 a[8+0:15+0], v[vgprValuB_X0_I0+0+0+0+2:vgprValuB_X0_I0+0+0+0+2+1], v[88:89], a[8:15]
 // Cr += -Ai*Bi
/*  mfmaIndex:59  */
s_setprio 3                                        // store optimization
/* sched write - iter 2 writesPerItem=1 */
s_waitcnt vmcnt(0)                                 // lgkmcnt=-1 vmcnt=0wait for global read before writing to local
_ds_store_b128 v[vgprLocalWriteAddrA], v[vgprG2LA+0:vgprG2LA+0+3] offset:0 // lwoA_0_0_0_0 = (0*LSCA)*(MT0I+PAD) + (0*LSPA) = 0
v_mfma_f64_16x16x4f64 a[56+0:63+0], v[vgprValuB_X0_I0+0+0+0+2:vgprValuB_X0_I0+0+0+0+2+1], v[90:91], a[56:63]
 // Ci += -Ar*Bi
/*  mfmaIndex:60  */
_buffer_load_b128 v[vgprG2LA+0:vgprG2LA+0+3], v[vgprGlobalReadOffsetA+0], s[sgprSrdA:sgprSrdA+3], 0, offen offset:0 // G -> Reg 0_0_0_0
v_mfma_f64_16x16x4f64 a[32+0:39+0], v[vgprValuB_X0_I0+4+0+0:vgprValuB_X0_I0+4+0+0+1], v[vgprValuA_X0_I0+4+0+0:vgprValuA_X0_I0+4+0+0+1], a[32:39]
 // Cr += Ar*Br
/*  mfmaIndex:61  */
/* sched write - iter 2 writesPerItem=1 */
s_waitcnt vmcnt(0)                                 // lgkmcnt=-1 vmcnt=0wait for global read before writing to local
_ds_store_b128 v[vgprLocalWriteAddrA], v[vgprG2LA+4:vgprG2LA+4+3] offset:5120 // lwoA_0_0_1_0 = (0*LSCA)*(MT0I+PAD) + (1*LSPA) = 5120
v_mfma_f64_16x16x4f64 a[80+0:87+0], v[vgprValuB_X0_I0+4+0+0:vgprValuB_X0_I0+4+0+0+1], v[88:89], a[80:87]
 // Ci += -Ai*Br
/*  mfmaIndex:62  */
_buffer_load_b128 v[vgprG2LA+4:vgprG2LA+4+3], v[vgprGlobalReadOffsetA+0], s[sgprSrdA:sgprSrdA+3], s[sgprScalarGlobalReadOffsetA+0], offen offset:0 // G -> Reg 0_0_1_0
v_mfma_f64_16x16x4f64 a[32+0:39+0], v[vgprValuB_X0_I0+4+0+0+2:vgprValuB_X0_I0+4+0+0+2+1], v[88:89], a[32:39]
 // Cr += -Ai*Bi
/*  mfmaIndex:63  */
v_mfma_f64_16x16x4f64 a[80+0:87+0], v[vgprValuB_X0_I0+4+0+0+2:vgprValuB_X0_I0+4+0+0+2+1], v[90:91], a[80:87]
 // Ci += -Ar*Bi
/*  mfmaIndex:64  */
/* sched write - iter 2 writesPerItem=1 */
s_waitcnt vmcnt(0)                                 // lgkmcnt=-1 vmcnt=0wait for global read before writing to local
_ds_store_b128 v[vgprLocalWriteAddrA], v[vgprG2LA+8:vgprG2LA+8+3] offset:10240 // lwoA_0_0_2_0 = (0*LSCA)*(MT0I+PAD) + (2*LSPA) = 10240
v_add_f64 v[88:89], -v[vgprValuA_X0_I0+8+0+0+2:vgprValuA_X0_I0+8+0+0+2+1], 0 // Ai=-Ai
v_add_f64 v[90:91], -v[vgprValuA_X0_I0+8+0+0:vgprValuA_X0_I0+8+0+0+1], 0 // Ar=-Ar
v_mfma_f64_16x16x4f64 a[16+0:23+0], v[vgprValuB_X0_I0+0+0+0:vgprValuB_X0_I0+0+0+0+1], v[vgprValuA_X0_I0+8+0+0:vgprValuA_X0_I0+8+0+0+1], a[16:23]
 // Cr += Ar*Br
/*  mfmaIndex:65  */
_buffer_load_b128 v[vgprG2LA+8:vgprG2LA+8+3], v[vgprGlobalReadOffsetA+0], s[sgprSrdA:sgprSrdA+3], s[sgprScalarGlobalReadOffsetA+1], offen offset:0 // G -> Reg 0_0_2_0
v_mfma_f64_16x16x4f64 a[64+0:71+0], v[vgprValuB_X0_I0+0+0+0:vgprValuB_X0_I0+0+0+0+1], v[88:89], a[64:71]
 // Ci += -Ai*Br
/*  mfmaIndex:66  */
v_mfma_f64_16x16x4f64 a[16+0:23+0], v[vgprValuB_X0_I0+0+0+0+2:vgprValuB_X0_I0+0+0+0+2+1], v[88:89], a[16:23]
 // Cr += -Ai*Bi
/*  mfmaIndex:67  */
/* sched write - iter 2 writesPerItem=1 */
s_waitcnt vmcnt(0)                                 // lgkmcnt=-1 vmcnt=0wait for global read before writing to local
_ds_store_b128 v[vgprLocalWriteAddrA], v[vgprG2LA+12:vgprG2LA+12+3] offset:15360 // lwoA_0_0_3_0 = (0*LSCA)*(MT0I+PAD) + (3*LSPA) = 15360
v_mfma_f64_16x16x4f64 a[64+0:71+0], v[vgprValuB_X0_I0+0+0+0+2:vgprValuB_X0_I0+0+0+0+2+1], v[90:91], a[64:71]
 // Ci += -Ar*Bi
/*  mfmaIndex:68  */
_buffer_load_b128 v[vgprG2LA+12:vgprG2LA+12+3], v[vgprGlobalReadOffsetA+0], s[sgprSrdA:sgprSrdA+3], s[sgprScalarGlobalReadOffsetA+2], offen offset:0 // G -> Reg 0_0_3_0
v_mfma_f64_16x16x4f64 a[40+0:47+0], v[vgprValuB_X0_I0+4+0+0:vgprValuB_X0_I0+4+0+0+1], v[vgprValuA_X0_I0+8+0+0:vgprValuA_X0_I0+8+0+0+1], a[40:47]
 // Cr += Ar*Br
/*  mfmaIndex:69  */
/* sched write - iter 2 writesPerItem=1 */
s_waitcnt vmcnt(0)                                 // lgkmcnt=-1 vmcnt=0wait for global read before writing to local
_ds_store_b128 v[vgprLocalWriteAddrA], v[vgprG2LA+16:vgprG2LA+16+3] offset:20480 // lwoA_0_0_4_0 = (0*LSCA)*(MT0I+PAD) + (4*LSPA) = 20480
v_mfma_f64_16x16x4f64 a[88+0:95+0], v[vgprValuB_X0_I0+4+0+0:vgprValuB_X0_I0+4+0+0+1], v[88:89], a[88:95]
 // Ci += -Ai*Br
/*  mfmaIndex:70  */
_buffer_load_b128 v[vgprG2LA+16:vgprG2LA+16+3], v[vgprGlobalReadOffsetA+0], s[sgprSrdA:sgprSrdA+3], s[sgprScalarGlobalReadOffsetA+3], offen offset:0 // G -> Reg 0_0_4_0
v_mfma_f64_16x16x4f64 a[40+0:47+0], v[vgprValuB_X0_I0+4+0+0+2:vgprValuB_X0_I0+4+0+0+2+1], v[88:89], a[40:47]
 // Cr += -Ai*Bi
/*  mfmaIndex:71  */

/* local read swap offsets a */

/* local read swap offsets b */

/* local read init pointers a */

/* localReadInitPointers */

/* local read init pointers b */

/* localReadInitPointers */
v_mfma_f64_16x16x4f64 a[88+0:95+0], v[vgprValuB_X0_I0+4+0+0+2:vgprValuB_X0_I0+4+0+0+2+1], v[90:91], a[88:95]
 // Ci += -Ar*Bi
/* numPrefetchIter=0 */
/* dataAtIterA=1 numReadsIterA=3 skipReadsIterA=1 readsPerIterA=3 */
/* dataAtIterB=1 numReadsIterB=3 skipReadsIterB=1 readsPerIterB=2 */


/* iter 3 (swap and reset local write pointers iteration)  */

/*  grEndMfmaIndex:4, lwStartMfmaIndex:59, lwEndMfmaIndex:84  */
/*  numMfmaForLR:9, barrierMfmaIndex:86, LocalWritePerMfma:0.375 */
/*  mfmaIndex:72  */
/* sched write - iter 3 writesPerItem=1 */
s_waitcnt vmcnt(0)                                 // lgkmcnt=-1 vmcnt=0wait for global read before writing to local
_ds_store_b128 v[vgprLocalWriteAddrA], v[vgprG2LA+20:vgprG2LA+20+3] offset:25600 // lwoA_0_0_5_0 = (0*LSCA)*(MT0I+PAD) + (5*LSPA) = 25600
s_waitcnt lgkmcnt(6)                               // lgkmcnt=0 vmcnt=-1wait for prior local read local write old=0, new=6 newLW=6 newLR=0
v_add_f64 v[88:89], -v[vgprValuA_X1_I0+0+0+0+2:vgprValuA_X1_I0+0+0+0+2+1], 0 // Ai=-Ai
v_add_f64 v[90:91], -v[vgprValuA_X1_I0+0+0+0:vgprValuA_X1_I0+0+0+0+1], 0 // Ar=-Ar
v_mfma_f64_16x16x4f64 a[0+0:7+0], v[vgprValuB_X1_I0+0+0+0:vgprValuB_X1_I0+0+0+0+1], v[vgprValuA_X1_I0+0+0+0:vgprValuA_X1_I0+0+0+0+1], a[0:7]
 // Cr += Ar*Br
/*  mfmaIndex:73  */
_buffer_load_b128 v[vgprG2LA+20:vgprG2LA+20+3], v[vgprGlobalReadOffsetA+0], s[sgprSrdA:sgprSrdA+3], s[sgprScalarGlobalReadOffsetA+4], offen offset:0 // G -> Reg 0_0_5_0
v_mfma_f64_16x16x4f64 a[48+0:55+0], v[vgprValuB_X1_I0+0+0+0:vgprValuB_X1_I0+0+0+0+1], v[88:89], a[48:55]
 // Ci += -Ai*Br
/*  mfmaIndex:74  */
v_mfma_f64_16x16x4f64 a[0+0:7+0], v[vgprValuB_X1_I0+0+0+0+2:vgprValuB_X1_I0+0+0+0+2+1], v[88:89], a[0:7]
 // Cr += -Ai*Bi
/*  mfmaIndex:75  */
/* sched write - iter 3 writesPerItem=1 */
s_waitcnt vmcnt(0)                                 // lgkmcnt=-1 vmcnt=0wait for global read before writing to local
_ds_store_b128 v[vgprLocalWriteAddrB], v[vgprG2LB+0:vgprG2LB+0+3] offset:0 // lwoB_0_0_0_0 = (0*LSCB) + (0*LSPB)(*MT1J+PAD) = 0
v_mfma_f64_16x16x4f64 a[48+0:55+0], v[vgprValuB_X1_I0+0+0+0+2:vgprValuB_X1_I0+0+0+0+2+1], v[90:91], a[48:55]
 // Ci += -Ar*Bi
/*  mfmaIndex:76  */
_buffer_load_b128 v[vgprG2LB+0:vgprG2LB+0+3], v[vgprGlobalReadOffsetB+0], s[sgprSrdB:sgprSrdB+3], 0, offen offset:0 // G -> Reg 0_0_0_0
v_mfma_f64_16x16x4f64 a[24+0:31+0], v[vgprValuB_X1_I0+4+0+0:vgprValuB_X1_I0+4+0+0+1], v[vgprValuA_X1_I0+0+0+0:vgprValuA_X1_I0+0+0+0+1], a[24:31]
 // Cr += Ar*Br
/*  mfmaIndex:77  */
/* sched write - iter 3 writesPerItem=1 */
s_waitcnt vmcnt(0)                                 // lgkmcnt=-1 vmcnt=0wait for global read before writing to local
_ds_store_b128 v[vgprLocalWriteAddrB], v[vgprG2LB+4:vgprG2LB+4+3] offset:4096 // lwoB_0_0_1_0 = (0*LSCB) + (1*LSPB)(*MT1J+PAD) = 4096
v_mfma_f64_16x16x4f64 a[72+0:79+0], v[vgprValuB_X1_I0+4+0+0:vgprValuB_X1_I0+4+0+0+1], v[88:89], a[72:79]
 // Ci += -Ai*Br
/*  mfmaIndex:78  */
_buffer_load_b128 v[vgprG2LB+4:vgprG2LB+4+3], v[vgprGlobalReadOffsetB+0], s[sgprSrdB:sgprSrdB+3], s[sgprScalarGlobalReadOffsetB+0], offen offset:0 // G -> Reg 0_0_1_0
v_mfma_f64_16x16x4f64 a[24+0:31+0], v[vgprValuB_X1_I0+4+0+0+2:vgprValuB_X1_I0+4+0+0+2+1], v[88:89], a[24:31]
 // Cr += -Ai*Bi
/*  mfmaIndex:79  */
v_mfma_f64_16x16x4f64 a[72+0:79+0], v[vgprValuB_X1_I0+4+0+0+2:vgprValuB_X1_I0+4+0+0+2+1], v[90:91], a[72:79]
 // Ci += -Ar*Bi
/*  mfmaIndex:80  */
/* sched write - iter 3 writesPerItem=1 */
s_waitcnt vmcnt(0)                                 // lgkmcnt=-1 vmcnt=0wait for global read before writing to local
_ds_store_b128 v[vgprLocalWriteAddrB], v[vgprG2LB+8:vgprG2LB+8+3] offset:8192 // lwoB_0_0_2_0 = (0*LSCB) + (2*LSPB)(*MT1J+PAD) = 8192
v_add_f64 v[88:89], -v[vgprValuA_X1_I0+4+0+0+2:vgprValuA_X1_I0+4+0+0+2+1], 0 // Ai=-Ai
v_add_f64 v[90:91], -v[vgprValuA_X1_I0+4+0+0:vgprValuA_X1_I0+4+0+0+1], 0 // Ar=-Ar
v_mfma_f64_16x16x4f64 a[8+0:15+0], v[vgprValuB_X1_I0+0+0+0:vgprValuB_X1_I0+0+0+0+1], v[vgprValuA_X1_I0+4+0+0:vgprValuA_X1_I0+4+0+0+1], a[8:15]
 // Cr += Ar*Br
/*  mfmaIndex:81  */
_buffer_load_b128 v[vgprG2LB+8:vgprG2LB+8+3], v[vgprGlobalReadOffsetB+0], s[sgprSrdB:sgprSrdB+3], s[sgprScalarGlobalReadOffsetB+1], offen offset:0 // G -> Reg 0_0_2_0
v_mfma_f64_16x16x4f64 a[56+0:63+0], v[vgprValuB_X1_I0+0+0+0:vgprValuB_X1_I0+0+0+0+1], v[88:89], a[56:63]
 // Ci += -Ai*Br
/*  mfmaIndex:82  */
v_mfma_f64_16x16x4f64 a[8+0:15+0], v[vgprValuB_X1_I0+0+0+0+2:vgprValuB_X1_I0+0+0+0+2+1], v[88:89], a[8:15]
 // Cr += -Ai*Bi
/*  mfmaIndex:83  */
/* sched write - iter 3 writesPerItem=1 */
s_waitcnt vmcnt(0)                                 // lgkmcnt=-1 vmcnt=0wait for global read before writing to local
_ds_store_b128 v[vgprLocalWriteAddrB], v[vgprG2LB+12:vgprG2LB+12+3] offset:12288 // lwoB_0_0_3_0 = (0*LSCB) + (3*LSPB)(*MT1J+PAD) = 12288
v_mfma_f64_16x16x4f64 a[56+0:63+0], v[vgprValuB_X1_I0+0+0+0+2:vgprValuB_X1_I0+0+0+0+2+1], v[90:91], a[56:63]
 // Ci += -Ar*Bi
/*  mfmaIndex:84  */
_buffer_load_b128 v[vgprG2LB+12:vgprG2LB+12+3], v[vgprGlobalReadOffsetB+0], s[sgprSrdB:sgprSrdB+3], s[sgprScalarGlobalReadOffsetB+2], offen offset:0 // G -> Reg 0_0_3_0

/* local write swap offsets a */

/* local write swap offsets b */
v_mfma_f64_16x16x4f64 a[32+0:39+0], v[vgprValuB_X1_I0+4+0+0:vgprValuB_X1_I0+4+0+0+1], v[vgprValuA_X1_I0+4+0+0:vgprValuA_X1_I0+4+0+0+1], a[32:39]
 // Cr += Ar*Br
/*  mfmaIndex:85  */
v_mfma_f64_16x16x4f64 a[80+0:87+0], v[vgprValuB_X1_I0+4+0+0:vgprValuB_X1_I0+4+0+0+1], v[88:89], a[80:87]
 // Ci += -Ai*Br
s_setprio 0                                        // store optimization
/*  mfmaIndex:86  */
s_waitcnt lgkmcnt(0)                               // lgkmcnt=0 vmcnt=-13wait for local write
// Skip force waitcnt0
s_barrier //
v_mfma_f64_16x16x4f64 a[32+0:39+0], v[vgprValuB_X1_I0+4+0+0+2:vgprValuB_X1_I0+4+0+0+2+1], v[88:89], a[32:39]
 // Cr += -Ai*Bi
/*  mfmaIndex:87  */
s_setprio 3                                        // store optimization
_ds_load_b128 v[vgprValuA_X0_I0+0:vgprValuA_X0_I0+0+3], v[vgprLocalReadAddrA] offset:0 // L -> Reg lro=0 swapByteOffset=0 ti=32 vIdx=0 rIdx=0 oIdx=0 buffer=0 iui=0
v_mfma_f64_16x16x4f64 a[80+0:87+0], v[vgprValuB_X1_I0+4+0+0+2:vgprValuB_X1_I0+4+0+0+2+1], v[90:91], a[80:87]
 // Ci += -Ar*Bi
/*  mfmaIndex:88  */
_ds_load_b128 v[vgprValuB_X0_I0+0:vgprValuB_X0_I0+0+3], v[vgprLocalReadAddrB] offset:0 // L -> Reg lro=0 swapByteOffset=0 ti=32 vIdx=0 rIdx=0 oIdx=0 buffer=0 iui=0
v_add_f64 v[88:89], -v[vgprValuA_X1_I0+8+0+0+2:vgprValuA_X1_I0+8+0+0+2+1], 0 // Ai=-Ai
v_add_f64 v[90:91], -v[vgprValuA_X1_I0+8+0+0:vgprValuA_X1_I0+8+0+0+1], 0 // Ar=-Ar
v_mfma_f64_16x16x4f64 a[16+0:23+0], v[vgprValuB_X1_I0+0+0+0:vgprValuB_X1_I0+0+0+0+1], v[vgprValuA_X1_I0+8+0+0:vgprValuA_X1_I0+8+0+0+1], a[16:23]
 // Cr += Ar*Br
/*  mfmaIndex:89  */
_ds_load_b128 v[vgprValuA_X0_I0+4:vgprValuA_X0_I0+4+3], v[vgprLocalReadAddrA] offset:10240 // L -> Reg lro=0 swapByteOffset=0 ti=32 vIdx=1 rIdx=0 oIdx=0 buffer=0 iui=0
v_mfma_f64_16x16x4f64 a[64+0:71+0], v[vgprValuB_X1_I0+0+0+0:vgprValuB_X1_I0+0+0+0+1], v[88:89], a[64:71]
 // Ci += -Ai*Br
/*  mfmaIndex:90  */
_ds_load_b128 v[vgprValuA_X0_I0+8:vgprValuA_X0_I0+8+3], v[vgprLocalReadAddrA] offset:20480 // L -> Reg lro=0 swapByteOffset=0 ti=32 vIdx=2 rIdx=0 oIdx=0 buffer=0 iui=0
v_mfma_f64_16x16x4f64 a[16+0:23+0], v[vgprValuB_X1_I0+0+0+0+2:vgprValuB_X1_I0+0+0+0+2+1], v[88:89], a[16:23]
 // Cr += -Ai*Bi
/*  mfmaIndex:91  */
_ds_load_b128 v[vgprValuB_X0_I0+4:vgprValuB_X0_I0+4+3], v[vgprLocalReadAddrB] offset:512 // L -> Reg lro=0 swapByteOffset=0 ti=32 vIdx=1 rIdx=0 oIdx=0 buffer=0 iui=0
v_mfma_f64_16x16x4f64 a[64+0:71+0], v[vgprValuB_X1_I0+0+0+0+2:vgprValuB_X1_I0+0+0+0+2+1], v[90:91], a[64:71]
 // Ci += -Ar*Bi
/*  mfmaIndex:92  */
v_mfma_f64_16x16x4f64 a[40+0:47+0], v[vgprValuB_X1_I0+4+0+0:vgprValuB_X1_I0+4+0+0+1], v[vgprValuA_X1_I0+8+0+0:vgprValuA_X1_I0+8+0+0+1], a[40:47]
 // Cr += Ar*Br
/*  mfmaIndex:93  */
v_mfma_f64_16x16x4f64 a[88+0:95+0], v[vgprValuB_X1_I0+4+0+0:vgprValuB_X1_I0+4+0+0+1], v[88:89], a[88:95]
 // Ci += -Ai*Br
/*  mfmaIndex:94  */
v_mfma_f64_16x16x4f64 a[40+0:47+0], v[vgprValuB_X1_I0+4+0+0+2:vgprValuB_X1_I0+4+0+0+2+1], v[88:89], a[40:47]
 // Cr += -Ai*Bi
/*  mfmaIndex:95  */
v_mfma_f64_16x16x4f64 a[88+0:95+0], v[vgprValuB_X1_I0+4+0+0+2:vgprValuB_X1_I0+4+0+0+2+1], v[90:91], a[88:95]
 // Ci += -Ar*Bi
s_setprio 0                                        // store optimization
/* numPrefetchIter=1 */
/* dataAtIterA=2 numReadsIterA=3 skipReadsIterA=1 readsPerIterA=3 */
/* dataAtIterB=2 numReadsIterB=3 skipReadsIterB=1 readsPerIterB=2 */


/******************************************/
/* Unrolled Loop - End 2/2 (final)        */
/******************************************/


/* closeLoop loopL finalLoop=1 tailLoop=0 */
s_sub_u32 s[sgprLoopCounterL], s[sgprLoopCounterL], 1 // dec counterL
s_cmp_eq_i32 s[sgprLoopCounterL], 0x2              // counterL==2
s_cbranch_scc0 LoopBeginL_1                        // restart LoopL
LoopEndL_evenexit_4: // unroll loop eveniter exit
s_branch LoopEndL_2                                // exit unroll loopL (and skip second exit code)
LoopEndL_oddexit_3: // unroll loop odditer exit

/* Select high bank of LDS */
LoopEndL_2:


/* Before NLL: Check VGPR.checkin for INT8 LW */


/******************************************/
/* Ord. NoGlobalLoadLoop - Begin                                      */
/******************************************/


	;; [unrolled: 1-line block ×3, first 2 shown]
/* iter 0 */

/*  grEndMfmaIndex:4, lwStartMfmaIndex:59, lwEndMfmaIndex:84  */
/*  numMfmaForLR:9, barrierMfmaIndex:86, LocalWritePerMfma:0.375 */
/*  mfmaIndex:0  */
s_waitcnt lgkmcnt(0)                               // lgkmcnt=0 vmcnt=-1wait for prior local read local write old=0, new=0 newLW=0 newLR=0
v_add_f64 v[88:89], -v[vgprValuA_X0_I0+0+0+0+2:vgprValuA_X0_I0+0+0+0+2+1], 0 // Ai=-Ai
v_add_f64 v[90:91], -v[vgprValuA_X0_I0+0+0+0:vgprValuA_X0_I0+0+0+0+1], 0 // Ar=-Ar
v_mfma_f64_16x16x4f64 a[0+0:7+0], v[vgprValuB_X0_I0+0+0+0:vgprValuB_X0_I0+0+0+0+1], v[vgprValuA_X0_I0+0+0+0:vgprValuA_X0_I0+0+0+0+1], a[0:7]
 // Cr += Ar*Br
/*  mfmaIndex:1  */
_ds_load_b128 v[vgprValuA_X1_I0+0:vgprValuA_X1_I0+0+3], v[vgprLocalReadAddrA] offset:64 // L -> Reg lro=4 swapByteOffset=0 ti=32 vIdx=0 rIdx=0 oIdx=0 buffer=1 iui=0

/* global read inc A loopL */
s_add_u32 s[sgprSrdA+0], s[sgprSrdA+0], s[sgprGlobalReadIncsA+0] // gra SRD += inc(lower)
s_addc_u32  s[sgprSrdA+1], s[sgprSrdA+1], 0        // gra SRD += inc(upper)
s_sub_u32 s[sgprShadowLimitA+0], s[sgprShadowLimitA+0], s[sgprGlobalReadIncsA+0] // limit -= inc)
v_mfma_f64_16x16x4f64 a[48+0:55+0], v[vgprValuB_X0_I0+0+0+0:vgprValuB_X0_I0+0+0+0+1], v[88:89], a[48:55]
 // Ci += -Ai*Br
/*  mfmaIndex:2  */
_ds_load_b128 v[vgprValuB_X1_I0+0:vgprValuB_X1_I0+0+3], v[vgprLocalReadAddrB] offset:4096 // L -> Reg lro=256 swapByteOffset=0 ti=32 vIdx=0 rIdx=0 oIdx=0 buffer=1 iui=0
s_subb_u32 s[sgprShadowLimitA+1], s[sgprShadowLimitA+1], 0 // limit -= inc)
s_cmp_eq_u32 s[sgprShadowLimitA+1], 0              // are we within 2^32?
s_cmov_b32 s[sgprSrdA+2], s[sgprShadowLimitA+0]    // Move shadow to real if we are within 2^32
v_mfma_f64_16x16x4f64 a[0+0:7+0], v[vgprValuB_X0_I0+0+0+0+2:vgprValuB_X0_I0+0+0+0+2+1], v[88:89], a[0:7]
 // Cr += -Ai*Bi
/*  mfmaIndex:3  */
_ds_load_b128 v[vgprValuA_X1_I0+4:vgprValuA_X1_I0+4+3], v[vgprLocalReadAddrA] offset:10304 // L -> Reg lro=4 swapByteOffset=0 ti=32 vIdx=1 rIdx=0 oIdx=0 buffer=1 iui=0

/* global read inc B loopL */
s_add_u32 s[sgprSrdB+0], s[sgprSrdB+0], s[sgprGlobalReadIncsB+0] // gra SRD += inc(lower)
s_addc_u32  s[sgprSrdB+1], s[sgprSrdB+1], 0        // gra SRD += inc(upper)
s_sub_u32 s[sgprShadowLimitB+0], s[sgprShadowLimitB+0], s[sgprGlobalReadIncsB+0] // limit -= inc)
v_mfma_f64_16x16x4f64 a[48+0:55+0], v[vgprValuB_X0_I0+0+0+0+2:vgprValuB_X0_I0+0+0+0+2+1], v[90:91], a[48:55]
 // Ci += -Ar*Bi
/*  mfmaIndex:4  */
_ds_load_b128 v[vgprValuA_X1_I0+8:vgprValuA_X1_I0+8+3], v[vgprLocalReadAddrA] offset:20544 // L -> Reg lro=4 swapByteOffset=0 ti=32 vIdx=2 rIdx=0 oIdx=0 buffer=1 iui=0
s_subb_u32 s[sgprShadowLimitB+1], s[sgprShadowLimitB+1], 0 // limit -= inc)
s_cmp_eq_u32 s[sgprShadowLimitB+1], 0              // are we within 2^32?
s_cmov_b32 s[sgprSrdB+2], s[sgprShadowLimitB+0]    // Move shadow to real if we are within 2^32
v_mfma_f64_16x16x4f64 a[24+0:31+0], v[vgprValuB_X0_I0+4+0+0:vgprValuB_X0_I0+4+0+0+1], v[vgprValuA_X0_I0+0+0+0:vgprValuA_X0_I0+0+0+0+1], a[24:31]
 // Cr += Ar*Br
/*  mfmaIndex:5  */
_ds_load_b128 v[vgprValuB_X1_I0+4:vgprValuB_X1_I0+4+3], v[vgprLocalReadAddrB] offset:4608 // L -> Reg lro=256 swapByteOffset=0 ti=32 vIdx=1 rIdx=0 oIdx=0 buffer=1 iui=0
/* localReadsVacancy: latencyLeft 1 */
v_mfma_f64_16x16x4f64 a[72+0:79+0], v[vgprValuB_X0_I0+4+0+0:vgprValuB_X0_I0+4+0+0+1], v[88:89], a[72:79]
 // Ci += -Ai*Br
/*  mfmaIndex:6  */
/* localReadsVacancy: latencyLeft 5 */
v_mfma_f64_16x16x4f64 a[24+0:31+0], v[vgprValuB_X0_I0+4+0+0+2:vgprValuB_X0_I0+4+0+0+2+1], v[88:89], a[24:31]
 // Cr += -Ai*Bi
/*  mfmaIndex:7  */
/* localReadsVacancy: latencyLeft 5 */
v_mfma_f64_16x16x4f64 a[72+0:79+0], v[vgprValuB_X0_I0+4+0+0+2:vgprValuB_X0_I0+4+0+0+2+1], v[90:91], a[72:79]
 // Ci += -Ar*Bi
/*  mfmaIndex:8  */
/* localReadsVacancy: latencyLeft 5 */
v_add_f64 v[88:89], -v[vgprValuA_X0_I0+4+0+0+2:vgprValuA_X0_I0+4+0+0+2+1], 0 // Ai=-Ai
v_add_f64 v[90:91], -v[vgprValuA_X0_I0+4+0+0:vgprValuA_X0_I0+4+0+0+1], 0 // Ar=-Ar
v_mfma_f64_16x16x4f64 a[8+0:15+0], v[vgprValuB_X0_I0+0+0+0:vgprValuB_X0_I0+0+0+0+1], v[vgprValuA_X0_I0+4+0+0:vgprValuA_X0_I0+4+0+0+1], a[8:15]
 // Cr += Ar*Br
/*  mfmaIndex:9  */
/* localReadsVacancy: latencyLeft 5 */
v_mfma_f64_16x16x4f64 a[56+0:63+0], v[vgprValuB_X0_I0+0+0+0:vgprValuB_X0_I0+0+0+0+1], v[88:89], a[56:63]
 // Ci += -Ai*Br
/*  mfmaIndex:10  */
/* localReadsVacancy: latencyLeft 5 */
v_mfma_f64_16x16x4f64 a[8+0:15+0], v[vgprValuB_X0_I0+0+0+0+2:vgprValuB_X0_I0+0+0+0+2+1], v[88:89], a[8:15]
 // Cr += -Ai*Bi
/*  mfmaIndex:11  */
/* localReadsVacancy: latencyLeft 5 */
v_mfma_f64_16x16x4f64 a[56+0:63+0], v[vgprValuB_X0_I0+0+0+0+2:vgprValuB_X0_I0+0+0+0+2+1], v[90:91], a[56:63]
 // Ci += -Ar*Bi
/*  mfmaIndex:12  */
/* localReadsVacancy: latencyLeft 5 */
v_mfma_f64_16x16x4f64 a[32+0:39+0], v[vgprValuB_X0_I0+4+0+0:vgprValuB_X0_I0+4+0+0+1], v[vgprValuA_X0_I0+4+0+0:vgprValuA_X0_I0+4+0+0+1], a[32:39]
 // Cr += Ar*Br
/*  mfmaIndex:13  */
/* localReadsVacancy: latencyLeft 5 */
v_mfma_f64_16x16x4f64 a[80+0:87+0], v[vgprValuB_X0_I0+4+0+0:vgprValuB_X0_I0+4+0+0+1], v[88:89], a[80:87]
 // Ci += -Ai*Br
/*  mfmaIndex:14  */
/* localReadsVacancy: latencyLeft 5 */
v_mfma_f64_16x16x4f64 a[32+0:39+0], v[vgprValuB_X0_I0+4+0+0+2:vgprValuB_X0_I0+4+0+0+2+1], v[88:89], a[32:39]
 // Cr += -Ai*Bi
/*  mfmaIndex:15  */
/* localReadsVacancy: latencyLeft 5 */
v_mfma_f64_16x16x4f64 a[80+0:87+0], v[vgprValuB_X0_I0+4+0+0+2:vgprValuB_X0_I0+4+0+0+2+1], v[90:91], a[80:87]
 // Ci += -Ar*Bi
/*  mfmaIndex:16  */
/* localReadsVacancy: latencyLeft 5 */
v_add_f64 v[88:89], -v[vgprValuA_X0_I0+8+0+0+2:vgprValuA_X0_I0+8+0+0+2+1], 0 // Ai=-Ai
v_add_f64 v[90:91], -v[vgprValuA_X0_I0+8+0+0:vgprValuA_X0_I0+8+0+0+1], 0 // Ar=-Ar
v_mfma_f64_16x16x4f64 a[16+0:23+0], v[vgprValuB_X0_I0+0+0+0:vgprValuB_X0_I0+0+0+0+1], v[vgprValuA_X0_I0+8+0+0:vgprValuA_X0_I0+8+0+0+1], a[16:23]
 // Cr += Ar*Br
/*  mfmaIndex:17  */
/* localReadsVacancy: latencyLeft 5 */
v_mfma_f64_16x16x4f64 a[64+0:71+0], v[vgprValuB_X0_I0+0+0+0:vgprValuB_X0_I0+0+0+0+1], v[88:89], a[64:71]
 // Ci += -Ai*Br
/*  mfmaIndex:18  */
/* localReadsVacancy: latencyLeft 5 */
v_mfma_f64_16x16x4f64 a[16+0:23+0], v[vgprValuB_X0_I0+0+0+0+2:vgprValuB_X0_I0+0+0+0+2+1], v[88:89], a[16:23]
 // Cr += -Ai*Bi
/*  mfmaIndex:19  */
/* localReadsVacancy: latencyLeft 5 */
v_mfma_f64_16x16x4f64 a[64+0:71+0], v[vgprValuB_X0_I0+0+0+0+2:vgprValuB_X0_I0+0+0+0+2+1], v[90:91], a[64:71]
 // Ci += -Ar*Bi
/*  mfmaIndex:20  */
/* localReadsVacancy: latencyLeft 5 */
v_mfma_f64_16x16x4f64 a[40+0:47+0], v[vgprValuB_X0_I0+4+0+0:vgprValuB_X0_I0+4+0+0+1], v[vgprValuA_X0_I0+8+0+0:vgprValuA_X0_I0+8+0+0+1], a[40:47]
 // Cr += Ar*Br
/*  mfmaIndex:21  */
/* localReadsVacancy: latencyLeft 5 */
v_mfma_f64_16x16x4f64 a[88+0:95+0], v[vgprValuB_X0_I0+4+0+0:vgprValuB_X0_I0+4+0+0+1], v[88:89], a[88:95]
 // Ci += -Ai*Br
/*  mfmaIndex:22  */
/* localReadsVacancy: latencyLeft 5 */
v_mfma_f64_16x16x4f64 a[40+0:47+0], v[vgprValuB_X0_I0+4+0+0+2:vgprValuB_X0_I0+4+0+0+2+1], v[88:89], a[40:47]
 // Cr += -Ai*Bi
/*  mfmaIndex:23  */
/* localReadsVacancy: latencyLeft 5 */
v_mfma_f64_16x16x4f64 a[88+0:95+0], v[vgprValuB_X0_I0+4+0+0+2:vgprValuB_X0_I0+4+0+0+2+1], v[90:91], a[88:95]
 // Ci += -Ar*Bi
/* numPrefetchIter=0 */
/* dataAtIterA=-1 numReadsIterA=1 skipReadsIterA=1 readsPerIterA=3 */
/* dataAtIterB=-1 numReadsIterB=1 skipReadsIterB=1 readsPerIterB=2 */


/* iter 1 */

/*  grEndMfmaIndex:4, lwStartMfmaIndex:59, lwEndMfmaIndex:84  */
/*  numMfmaForLR:9, barrierMfmaIndex:86, LocalWritePerMfma:0.375 */
/*  mfmaIndex:24  */
_ds_load_b128 v[vgprValuA_X0_I0+0:vgprValuA_X0_I0+0+3], v[vgprLocalReadAddrA] offset:128 // L -> Reg lro=8 swapByteOffset=0 ti=32 vIdx=0 rIdx=0 oIdx=0 buffer=0 iui=0
s_waitcnt lgkmcnt(1)                               // lgkmcnt=0 vmcnt=-1wait for prior local read local write old=0, new=1 newLW=0 newLR=1
v_add_f64 v[88:89], -v[vgprValuA_X1_I0+0+0+0+2:vgprValuA_X1_I0+0+0+0+2+1], 0 // Ai=-Ai
v_add_f64 v[90:91], -v[vgprValuA_X1_I0+0+0+0:vgprValuA_X1_I0+0+0+0+1], 0 // Ar=-Ar
v_mfma_f64_16x16x4f64 a[0+0:7+0], v[vgprValuB_X1_I0+0+0+0:vgprValuB_X1_I0+0+0+0+1], v[vgprValuA_X1_I0+0+0+0:vgprValuA_X1_I0+0+0+0+1], a[0:7]
 // Cr += Ar*Br
/*  mfmaIndex:25  */
_ds_load_b128 v[vgprValuB_X0_I0+0:vgprValuB_X0_I0+0+3], v[vgprLocalReadAddrB] offset:8192 // L -> Reg lro=512 swapByteOffset=0 ti=32 vIdx=0 rIdx=0 oIdx=0 buffer=0 iui=0
v_mfma_f64_16x16x4f64 a[48+0:55+0], v[vgprValuB_X1_I0+0+0+0:vgprValuB_X1_I0+0+0+0+1], v[88:89], a[48:55]
 // Ci += -Ai*Br
/*  mfmaIndex:26  */
_ds_load_b128 v[vgprValuA_X0_I0+4:vgprValuA_X0_I0+4+3], v[vgprLocalReadAddrA] offset:10368 // L -> Reg lro=8 swapByteOffset=0 ti=32 vIdx=1 rIdx=0 oIdx=0 buffer=0 iui=0
v_mfma_f64_16x16x4f64 a[0+0:7+0], v[vgprValuB_X1_I0+0+0+0+2:vgprValuB_X1_I0+0+0+0+2+1], v[88:89], a[0:7]
 // Cr += -Ai*Bi
/*  mfmaIndex:27  */
_ds_load_b128 v[vgprValuA_X0_I0+8:vgprValuA_X0_I0+8+3], v[vgprLocalReadAddrA] offset:20608 // L -> Reg lro=8 swapByteOffset=0 ti=32 vIdx=2 rIdx=0 oIdx=0 buffer=0 iui=0
v_mfma_f64_16x16x4f64 a[48+0:55+0], v[vgprValuB_X1_I0+0+0+0+2:vgprValuB_X1_I0+0+0+0+2+1], v[90:91], a[48:55]
 // Ci += -Ar*Bi
/*  mfmaIndex:28  */
_ds_load_b128 v[vgprValuB_X0_I0+4:vgprValuB_X0_I0+4+3], v[vgprLocalReadAddrB] offset:8704 // L -> Reg lro=512 swapByteOffset=0 ti=32 vIdx=1 rIdx=0 oIdx=0 buffer=0 iui=0
/* localReadsVacancy: latencyLeft 1 */
v_mfma_f64_16x16x4f64 a[24+0:31+0], v[vgprValuB_X1_I0+4+0+0:vgprValuB_X1_I0+4+0+0+1], v[vgprValuA_X1_I0+0+0+0:vgprValuA_X1_I0+0+0+0+1], a[24:31]
 // Cr += Ar*Br
/*  mfmaIndex:29  */
/* localReadsVacancy: latencyLeft 5 */
v_mfma_f64_16x16x4f64 a[72+0:79+0], v[vgprValuB_X1_I0+4+0+0:vgprValuB_X1_I0+4+0+0+1], v[88:89], a[72:79]
 // Ci += -Ai*Br
/*  mfmaIndex:30  */
/* localReadsVacancy: latencyLeft 5 */
v_mfma_f64_16x16x4f64 a[24+0:31+0], v[vgprValuB_X1_I0+4+0+0+2:vgprValuB_X1_I0+4+0+0+2+1], v[88:89], a[24:31]
 // Cr += -Ai*Bi
/*  mfmaIndex:31  */
/* localReadsVacancy: latencyLeft 5 */
v_mfma_f64_16x16x4f64 a[72+0:79+0], v[vgprValuB_X1_I0+4+0+0+2:vgprValuB_X1_I0+4+0+0+2+1], v[90:91], a[72:79]
 // Ci += -Ar*Bi
/*  mfmaIndex:32  */
/* localReadsVacancy: latencyLeft 5 */
v_add_f64 v[88:89], -v[vgprValuA_X1_I0+4+0+0+2:vgprValuA_X1_I0+4+0+0+2+1], 0 // Ai=-Ai
v_add_f64 v[90:91], -v[vgprValuA_X1_I0+4+0+0:vgprValuA_X1_I0+4+0+0+1], 0 // Ar=-Ar
v_mfma_f64_16x16x4f64 a[8+0:15+0], v[vgprValuB_X1_I0+0+0+0:vgprValuB_X1_I0+0+0+0+1], v[vgprValuA_X1_I0+4+0+0:vgprValuA_X1_I0+4+0+0+1], a[8:15]
 // Cr += Ar*Br
/*  mfmaIndex:33  */
/* localReadsVacancy: latencyLeft 5 */
v_mfma_f64_16x16x4f64 a[56+0:63+0], v[vgprValuB_X1_I0+0+0+0:vgprValuB_X1_I0+0+0+0+1], v[88:89], a[56:63]
 // Ci += -Ai*Br
/*  mfmaIndex:34  */
/* localReadsVacancy: latencyLeft 5 */
v_mfma_f64_16x16x4f64 a[8+0:15+0], v[vgprValuB_X1_I0+0+0+0+2:vgprValuB_X1_I0+0+0+0+2+1], v[88:89], a[8:15]
 // Cr += -Ai*Bi
/*  mfmaIndex:35  */
/* localReadsVacancy: latencyLeft 5 */
v_mfma_f64_16x16x4f64 a[56+0:63+0], v[vgprValuB_X1_I0+0+0+0+2:vgprValuB_X1_I0+0+0+0+2+1], v[90:91], a[56:63]
 // Ci += -Ar*Bi
/*  mfmaIndex:36  */
/* localReadsVacancy: latencyLeft 5 */
v_mfma_f64_16x16x4f64 a[32+0:39+0], v[vgprValuB_X1_I0+4+0+0:vgprValuB_X1_I0+4+0+0+1], v[vgprValuA_X1_I0+4+0+0:vgprValuA_X1_I0+4+0+0+1], a[32:39]
 // Cr += Ar*Br
/*  mfmaIndex:37  */
/* localReadsVacancy: latencyLeft 5 */
v_mfma_f64_16x16x4f64 a[80+0:87+0], v[vgprValuB_X1_I0+4+0+0:vgprValuB_X1_I0+4+0+0+1], v[88:89], a[80:87]
 // Ci += -Ai*Br
/*  mfmaIndex:38  */
/* localReadsVacancy: latencyLeft 5 */
v_mfma_f64_16x16x4f64 a[32+0:39+0], v[vgprValuB_X1_I0+4+0+0+2:vgprValuB_X1_I0+4+0+0+2+1], v[88:89], a[32:39]
 // Cr += -Ai*Bi
/*  mfmaIndex:39  */
/* localReadsVacancy: latencyLeft 5 */
v_mfma_f64_16x16x4f64 a[80+0:87+0], v[vgprValuB_X1_I0+4+0+0+2:vgprValuB_X1_I0+4+0+0+2+1], v[90:91], a[80:87]
 // Ci += -Ar*Bi
/*  mfmaIndex:40  */
/* localReadsVacancy: latencyLeft 5 */
v_add_f64 v[88:89], -v[vgprValuA_X1_I0+8+0+0+2:vgprValuA_X1_I0+8+0+0+2+1], 0 // Ai=-Ai
v_add_f64 v[90:91], -v[vgprValuA_X1_I0+8+0+0:vgprValuA_X1_I0+8+0+0+1], 0 // Ar=-Ar
v_mfma_f64_16x16x4f64 a[16+0:23+0], v[vgprValuB_X1_I0+0+0+0:vgprValuB_X1_I0+0+0+0+1], v[vgprValuA_X1_I0+8+0+0:vgprValuA_X1_I0+8+0+0+1], a[16:23]
 // Cr += Ar*Br
/*  mfmaIndex:41  */
/* localReadsVacancy: latencyLeft 5 */
v_mfma_f64_16x16x4f64 a[64+0:71+0], v[vgprValuB_X1_I0+0+0+0:vgprValuB_X1_I0+0+0+0+1], v[88:89], a[64:71]
 // Ci += -Ai*Br
/*  mfmaIndex:42  */
/* localReadsVacancy: latencyLeft 5 */
v_mfma_f64_16x16x4f64 a[16+0:23+0], v[vgprValuB_X1_I0+0+0+0+2:vgprValuB_X1_I0+0+0+0+2+1], v[88:89], a[16:23]
 // Cr += -Ai*Bi
/*  mfmaIndex:43  */
/* localReadsVacancy: latencyLeft 5 */
v_mfma_f64_16x16x4f64 a[64+0:71+0], v[vgprValuB_X1_I0+0+0+0+2:vgprValuB_X1_I0+0+0+0+2+1], v[90:91], a[64:71]
 // Ci += -Ar*Bi
/*  mfmaIndex:44  */
/* localReadsVacancy: latencyLeft 5 */
v_mfma_f64_16x16x4f64 a[40+0:47+0], v[vgprValuB_X1_I0+4+0+0:vgprValuB_X1_I0+4+0+0+1], v[vgprValuA_X1_I0+8+0+0:vgprValuA_X1_I0+8+0+0+1], a[40:47]
 // Cr += Ar*Br
/*  mfmaIndex:45  */
/* localReadsVacancy: latencyLeft 5 */
v_mfma_f64_16x16x4f64 a[88+0:95+0], v[vgprValuB_X1_I0+4+0+0:vgprValuB_X1_I0+4+0+0+1], v[88:89], a[88:95]
 // Ci += -Ai*Br
/*  mfmaIndex:46  */
/* localReadsVacancy: latencyLeft 5 */
v_mfma_f64_16x16x4f64 a[40+0:47+0], v[vgprValuB_X1_I0+4+0+0+2:vgprValuB_X1_I0+4+0+0+2+1], v[88:89], a[40:47]
 // Cr += -Ai*Bi
/*  mfmaIndex:47  */
/* localReadsVacancy: latencyLeft 5 */
v_mfma_f64_16x16x4f64 a[88+0:95+0], v[vgprValuB_X1_I0+4+0+0+2:vgprValuB_X1_I0+4+0+0+2+1], v[90:91], a[88:95]
 // Ci += -Ar*Bi
/* numPrefetchIter=0 */
/* dataAtIterA=0 numReadsIterA=2 skipReadsIterA=1 readsPerIterA=3 */
/* dataAtIterB=0 numReadsIterB=2 skipReadsIterB=1 readsPerIterB=2 */


/* iter 2 (reset local read pointers iteration)  (swap local read pointers iteration)  */

/*  grEndMfmaIndex:4, lwStartMfmaIndex:59, lwEndMfmaIndex:84  */
/*  numMfmaForLR:9, barrierMfmaIndex:86, LocalWritePerMfma:0.375 */
/*  mfmaIndex:48  */
_ds_load_b128 v[vgprValuA_X1_I0+0:vgprValuA_X1_I0+0+3], v[vgprLocalReadAddrA] offset:192 // L -> Reg lro=12 swapByteOffset=0 ti=32 vIdx=0 rIdx=0 oIdx=0 buffer=1 iui=0
s_waitcnt lgkmcnt(1)                               // lgkmcnt=0 vmcnt=-1wait for prior local read local write old=0, new=1 newLW=0 newLR=1
v_add_f64 v[88:89], -v[vgprValuA_X0_I0+0+0+0+2:vgprValuA_X0_I0+0+0+0+2+1], 0 // Ai=-Ai
v_add_f64 v[90:91], -v[vgprValuA_X0_I0+0+0+0:vgprValuA_X0_I0+0+0+0+1], 0 // Ar=-Ar
v_mfma_f64_16x16x4f64 a[0+0:7+0], v[vgprValuB_X0_I0+0+0+0:vgprValuB_X0_I0+0+0+0+1], v[vgprValuA_X0_I0+0+0+0:vgprValuA_X0_I0+0+0+0+1], a[0:7]
 // Cr += Ar*Br
/*  mfmaIndex:49  */
_ds_load_b128 v[vgprValuB_X1_I0+0:vgprValuB_X1_I0+0+3], v[vgprLocalReadAddrB] offset:12288 // L -> Reg lro=768 swapByteOffset=0 ti=32 vIdx=0 rIdx=0 oIdx=0 buffer=1 iui=0
v_mfma_f64_16x16x4f64 a[48+0:55+0], v[vgprValuB_X0_I0+0+0+0:vgprValuB_X0_I0+0+0+0+1], v[88:89], a[48:55]
 // Ci += -Ai*Br
/*  mfmaIndex:50  */
_ds_load_b128 v[vgprValuA_X1_I0+4:vgprValuA_X1_I0+4+3], v[vgprLocalReadAddrA] offset:10432 // L -> Reg lro=12 swapByteOffset=0 ti=32 vIdx=1 rIdx=0 oIdx=0 buffer=1 iui=0
v_mfma_f64_16x16x4f64 a[0+0:7+0], v[vgprValuB_X0_I0+0+0+0+2:vgprValuB_X0_I0+0+0+0+2+1], v[88:89], a[0:7]
 // Cr += -Ai*Bi
/*  mfmaIndex:51  */
_ds_load_b128 v[vgprValuA_X1_I0+8:vgprValuA_X1_I0+8+3], v[vgprLocalReadAddrA] offset:20672 // L -> Reg lro=12 swapByteOffset=0 ti=32 vIdx=2 rIdx=0 oIdx=0 buffer=1 iui=0
v_mfma_f64_16x16x4f64 a[48+0:55+0], v[vgprValuB_X0_I0+0+0+0+2:vgprValuB_X0_I0+0+0+0+2+1], v[90:91], a[48:55]
 // Ci += -Ar*Bi
/*  mfmaIndex:52  */
_ds_load_b128 v[vgprValuB_X1_I0+4:vgprValuB_X1_I0+4+3], v[vgprLocalReadAddrB] offset:12800 // L -> Reg lro=768 swapByteOffset=0 ti=32 vIdx=1 rIdx=0 oIdx=0 buffer=1 iui=0
/* localReadsVacancy: latencyLeft 1 */
v_mfma_f64_16x16x4f64 a[24+0:31+0], v[vgprValuB_X0_I0+4+0+0:vgprValuB_X0_I0+4+0+0+1], v[vgprValuA_X0_I0+0+0+0:vgprValuA_X0_I0+0+0+0+1], a[24:31]
 // Cr += Ar*Br
/*  mfmaIndex:53  */
/* localReadsVacancy: latencyLeft 5 */
v_mfma_f64_16x16x4f64 a[72+0:79+0], v[vgprValuB_X0_I0+4+0+0:vgprValuB_X0_I0+4+0+0+1], v[88:89], a[72:79]
 // Ci += -Ai*Br
/*  mfmaIndex:54  */
/* localReadsVacancy: latencyLeft 5 */
v_mfma_f64_16x16x4f64 a[24+0:31+0], v[vgprValuB_X0_I0+4+0+0+2:vgprValuB_X0_I0+4+0+0+2+1], v[88:89], a[24:31]
 // Cr += -Ai*Bi
/*  mfmaIndex:55  */
/* localReadsVacancy: latencyLeft 5 */
v_mfma_f64_16x16x4f64 a[72+0:79+0], v[vgprValuB_X0_I0+4+0+0+2:vgprValuB_X0_I0+4+0+0+2+1], v[90:91], a[72:79]
 // Ci += -Ar*Bi
/*  mfmaIndex:56  */
/* localReadsVacancy: latencyLeft 5 */
v_add_f64 v[88:89], -v[vgprValuA_X0_I0+4+0+0+2:vgprValuA_X0_I0+4+0+0+2+1], 0 // Ai=-Ai
v_add_f64 v[90:91], -v[vgprValuA_X0_I0+4+0+0:vgprValuA_X0_I0+4+0+0+1], 0 // Ar=-Ar
v_mfma_f64_16x16x4f64 a[8+0:15+0], v[vgprValuB_X0_I0+0+0+0:vgprValuB_X0_I0+0+0+0+1], v[vgprValuA_X0_I0+4+0+0:vgprValuA_X0_I0+4+0+0+1], a[8:15]
 // Cr += Ar*Br
/*  mfmaIndex:57  */
/* localReadsVacancy: latencyLeft 5 */
v_mfma_f64_16x16x4f64 a[56+0:63+0], v[vgprValuB_X0_I0+0+0+0:vgprValuB_X0_I0+0+0+0+1], v[88:89], a[56:63]
 // Ci += -Ai*Br
/*  mfmaIndex:58  */
/* localReadsVacancy: latencyLeft 5 */
/* 1 LDS buffer: read-sync-write */
s_waitcnt lgkmcnt(0)                               // 
s_barrier                                          // 
v_mfma_f64_16x16x4f64 a[8+0:15+0], v[vgprValuB_X0_I0+0+0+0+2:vgprValuB_X0_I0+0+0+0+2+1], v[88:89], a[8:15]
 // Cr += -Ai*Bi
/*  mfmaIndex:59  */
s_setprio 3                                        // store optimization
/* sched write - iter 2 writesPerItem=1 */
s_waitcnt vmcnt(0)                                 // lgkmcnt=-1 vmcnt=0wait for global read before writing to local
_ds_store_b128 v[vgprLocalWriteAddrA], v[vgprG2LA+0:vgprG2LA+0+3] offset:0 // lwoA_0_0_0_0 = (0*LSCA)*(MT0I+PAD) + (0*LSPA) = 0
v_mfma_f64_16x16x4f64 a[56+0:63+0], v[vgprValuB_X0_I0+0+0+0+2:vgprValuB_X0_I0+0+0+0+2+1], v[90:91], a[56:63]
 // Ci += -Ar*Bi
/*  mfmaIndex:60  */
v_mfma_f64_16x16x4f64 a[32+0:39+0], v[vgprValuB_X0_I0+4+0+0:vgprValuB_X0_I0+4+0+0+1], v[vgprValuA_X0_I0+4+0+0:vgprValuA_X0_I0+4+0+0+1], a[32:39]
 // Cr += Ar*Br
/*  mfmaIndex:61  */
/* sched write - iter 2 writesPerItem=1 */
s_waitcnt vmcnt(0)                                 // lgkmcnt=-1 vmcnt=0wait for global read before writing to local
_ds_store_b128 v[vgprLocalWriteAddrA], v[vgprG2LA+4:vgprG2LA+4+3] offset:5120 // lwoA_0_0_1_0 = (0*LSCA)*(MT0I+PAD) + (1*LSPA) = 5120
v_mfma_f64_16x16x4f64 a[80+0:87+0], v[vgprValuB_X0_I0+4+0+0:vgprValuB_X0_I0+4+0+0+1], v[88:89], a[80:87]
 // Ci += -Ai*Br
/*  mfmaIndex:62  */
v_mfma_f64_16x16x4f64 a[32+0:39+0], v[vgprValuB_X0_I0+4+0+0+2:vgprValuB_X0_I0+4+0+0+2+1], v[88:89], a[32:39]
 // Cr += -Ai*Bi
/*  mfmaIndex:63  */
v_mfma_f64_16x16x4f64 a[80+0:87+0], v[vgprValuB_X0_I0+4+0+0+2:vgprValuB_X0_I0+4+0+0+2+1], v[90:91], a[80:87]
 // Ci += -Ar*Bi
/*  mfmaIndex:64  */
/* sched write - iter 2 writesPerItem=1 */
s_waitcnt vmcnt(0)                                 // lgkmcnt=-1 vmcnt=0wait for global read before writing to local
_ds_store_b128 v[vgprLocalWriteAddrA], v[vgprG2LA+8:vgprG2LA+8+3] offset:10240 // lwoA_0_0_2_0 = (0*LSCA)*(MT0I+PAD) + (2*LSPA) = 10240
v_add_f64 v[88:89], -v[vgprValuA_X0_I0+8+0+0+2:vgprValuA_X0_I0+8+0+0+2+1], 0 // Ai=-Ai
v_add_f64 v[90:91], -v[vgprValuA_X0_I0+8+0+0:vgprValuA_X0_I0+8+0+0+1], 0 // Ar=-Ar
v_mfma_f64_16x16x4f64 a[16+0:23+0], v[vgprValuB_X0_I0+0+0+0:vgprValuB_X0_I0+0+0+0+1], v[vgprValuA_X0_I0+8+0+0:vgprValuA_X0_I0+8+0+0+1], a[16:23]
 // Cr += Ar*Br
/*  mfmaIndex:65  */
v_mfma_f64_16x16x4f64 a[64+0:71+0], v[vgprValuB_X0_I0+0+0+0:vgprValuB_X0_I0+0+0+0+1], v[88:89], a[64:71]
 // Ci += -Ai*Br
/*  mfmaIndex:66  */
v_mfma_f64_16x16x4f64 a[16+0:23+0], v[vgprValuB_X0_I0+0+0+0+2:vgprValuB_X0_I0+0+0+0+2+1], v[88:89], a[16:23]
 // Cr += -Ai*Bi
/*  mfmaIndex:67  */
/* sched write - iter 2 writesPerItem=1 */
s_waitcnt vmcnt(0)                                 // lgkmcnt=-1 vmcnt=0wait for global read before writing to local
_ds_store_b128 v[vgprLocalWriteAddrA], v[vgprG2LA+12:vgprG2LA+12+3] offset:15360 // lwoA_0_0_3_0 = (0*LSCA)*(MT0I+PAD) + (3*LSPA) = 15360
v_mfma_f64_16x16x4f64 a[64+0:71+0], v[vgprValuB_X0_I0+0+0+0+2:vgprValuB_X0_I0+0+0+0+2+1], v[90:91], a[64:71]
 // Ci += -Ar*Bi
/*  mfmaIndex:68  */
v_mfma_f64_16x16x4f64 a[40+0:47+0], v[vgprValuB_X0_I0+4+0+0:vgprValuB_X0_I0+4+0+0+1], v[vgprValuA_X0_I0+8+0+0:vgprValuA_X0_I0+8+0+0+1], a[40:47]
 // Cr += Ar*Br
/*  mfmaIndex:69  */
/* sched write - iter 2 writesPerItem=1 */
s_waitcnt vmcnt(0)                                 // lgkmcnt=-1 vmcnt=0wait for global read before writing to local
_ds_store_b128 v[vgprLocalWriteAddrA], v[vgprG2LA+16:vgprG2LA+16+3] offset:20480 // lwoA_0_0_4_0 = (0*LSCA)*(MT0I+PAD) + (4*LSPA) = 20480
v_mfma_f64_16x16x4f64 a[88+0:95+0], v[vgprValuB_X0_I0+4+0+0:vgprValuB_X0_I0+4+0+0+1], v[88:89], a[88:95]
 // Ci += -Ai*Br
/*  mfmaIndex:70  */
v_mfma_f64_16x16x4f64 a[40+0:47+0], v[vgprValuB_X0_I0+4+0+0+2:vgprValuB_X0_I0+4+0+0+2+1], v[88:89], a[40:47]
 // Cr += -Ai*Bi
/*  mfmaIndex:71  */

/* local read swap offsets a */

/* local read swap offsets b */

/* local read init pointers a */

/* localReadInitPointers */

/* local read init pointers b */

/* localReadInitPointers */
v_mfma_f64_16x16x4f64 a[88+0:95+0], v[vgprValuB_X0_I0+4+0+0+2:vgprValuB_X0_I0+4+0+0+2+1], v[90:91], a[88:95]
 // Ci += -Ar*Bi
/* numPrefetchIter=0 */
/* dataAtIterA=1 numReadsIterA=3 skipReadsIterA=1 readsPerIterA=3 */
/* dataAtIterB=1 numReadsIterB=3 skipReadsIterB=1 readsPerIterB=2 */


/* iter 3 (swap and reset local write pointers iteration)  */

/*  grEndMfmaIndex:4, lwStartMfmaIndex:59, lwEndMfmaIndex:84  */
/*  numMfmaForLR:9, barrierMfmaIndex:86, LocalWritePerMfma:0.375 */
/*  mfmaIndex:72  */
/* sched write - iter 3 writesPerItem=1 */
s_waitcnt vmcnt(0)                                 // lgkmcnt=-1 vmcnt=0wait for global read before writing to local
_ds_store_b128 v[vgprLocalWriteAddrA], v[vgprG2LA+20:vgprG2LA+20+3] offset:25600 // lwoA_0_0_5_0 = (0*LSCA)*(MT0I+PAD) + (5*LSPA) = 25600
s_waitcnt lgkmcnt(6)                               // lgkmcnt=0 vmcnt=-1wait for prior local read local write old=0, new=6 newLW=6 newLR=0
v_add_f64 v[88:89], -v[vgprValuA_X1_I0+0+0+0+2:vgprValuA_X1_I0+0+0+0+2+1], 0 // Ai=-Ai
v_add_f64 v[90:91], -v[vgprValuA_X1_I0+0+0+0:vgprValuA_X1_I0+0+0+0+1], 0 // Ar=-Ar
v_mfma_f64_16x16x4f64 a[0+0:7+0], v[vgprValuB_X1_I0+0+0+0:vgprValuB_X1_I0+0+0+0+1], v[vgprValuA_X1_I0+0+0+0:vgprValuA_X1_I0+0+0+0+1], a[0:7]
 // Cr += Ar*Br
/*  mfmaIndex:73  */
v_mfma_f64_16x16x4f64 a[48+0:55+0], v[vgprValuB_X1_I0+0+0+0:vgprValuB_X1_I0+0+0+0+1], v[88:89], a[48:55]
 // Ci += -Ai*Br
/*  mfmaIndex:74  */
v_mfma_f64_16x16x4f64 a[0+0:7+0], v[vgprValuB_X1_I0+0+0+0+2:vgprValuB_X1_I0+0+0+0+2+1], v[88:89], a[0:7]
 // Cr += -Ai*Bi
/*  mfmaIndex:75  */
/* sched write - iter 3 writesPerItem=1 */
s_waitcnt vmcnt(0)                                 // lgkmcnt=-1 vmcnt=0wait for global read before writing to local
_ds_store_b128 v[vgprLocalWriteAddrB], v[vgprG2LB+0:vgprG2LB+0+3] offset:0 // lwoB_0_0_0_0 = (0*LSCB) + (0*LSPB)(*MT1J+PAD) = 0
v_mfma_f64_16x16x4f64 a[48+0:55+0], v[vgprValuB_X1_I0+0+0+0+2:vgprValuB_X1_I0+0+0+0+2+1], v[90:91], a[48:55]
 // Ci += -Ar*Bi
/*  mfmaIndex:76  */
v_mfma_f64_16x16x4f64 a[24+0:31+0], v[vgprValuB_X1_I0+4+0+0:vgprValuB_X1_I0+4+0+0+1], v[vgprValuA_X1_I0+0+0+0:vgprValuA_X1_I0+0+0+0+1], a[24:31]
 // Cr += Ar*Br
/*  mfmaIndex:77  */
/* sched write - iter 3 writesPerItem=1 */
s_waitcnt vmcnt(0)                                 // lgkmcnt=-1 vmcnt=0wait for global read before writing to local
_ds_store_b128 v[vgprLocalWriteAddrB], v[vgprG2LB+4:vgprG2LB+4+3] offset:4096 // lwoB_0_0_1_0 = (0*LSCB) + (1*LSPB)(*MT1J+PAD) = 4096
v_mfma_f64_16x16x4f64 a[72+0:79+0], v[vgprValuB_X1_I0+4+0+0:vgprValuB_X1_I0+4+0+0+1], v[88:89], a[72:79]
 // Ci += -Ai*Br
/*  mfmaIndex:78  */
v_mfma_f64_16x16x4f64 a[24+0:31+0], v[vgprValuB_X1_I0+4+0+0+2:vgprValuB_X1_I0+4+0+0+2+1], v[88:89], a[24:31]
 // Cr += -Ai*Bi
/*  mfmaIndex:79  */
v_mfma_f64_16x16x4f64 a[72+0:79+0], v[vgprValuB_X1_I0+4+0+0+2:vgprValuB_X1_I0+4+0+0+2+1], v[90:91], a[72:79]
 // Ci += -Ar*Bi
/*  mfmaIndex:80  */
/* sched write - iter 3 writesPerItem=1 */
s_waitcnt vmcnt(0)                                 // lgkmcnt=-1 vmcnt=0wait for global read before writing to local
_ds_store_b128 v[vgprLocalWriteAddrB], v[vgprG2LB+8:vgprG2LB+8+3] offset:8192 // lwoB_0_0_2_0 = (0*LSCB) + (2*LSPB)(*MT1J+PAD) = 8192
v_add_f64 v[88:89], -v[vgprValuA_X1_I0+4+0+0+2:vgprValuA_X1_I0+4+0+0+2+1], 0 // Ai=-Ai
v_add_f64 v[90:91], -v[vgprValuA_X1_I0+4+0+0:vgprValuA_X1_I0+4+0+0+1], 0 // Ar=-Ar
v_mfma_f64_16x16x4f64 a[8+0:15+0], v[vgprValuB_X1_I0+0+0+0:vgprValuB_X1_I0+0+0+0+1], v[vgprValuA_X1_I0+4+0+0:vgprValuA_X1_I0+4+0+0+1], a[8:15]
 // Cr += Ar*Br
/*  mfmaIndex:81  */
v_mfma_f64_16x16x4f64 a[56+0:63+0], v[vgprValuB_X1_I0+0+0+0:vgprValuB_X1_I0+0+0+0+1], v[88:89], a[56:63]
 // Ci += -Ai*Br
/*  mfmaIndex:82  */
v_mfma_f64_16x16x4f64 a[8+0:15+0], v[vgprValuB_X1_I0+0+0+0+2:vgprValuB_X1_I0+0+0+0+2+1], v[88:89], a[8:15]
 // Cr += -Ai*Bi
/*  mfmaIndex:83  */
/* sched write - iter 3 writesPerItem=1 */
s_waitcnt vmcnt(0)                                 // lgkmcnt=-1 vmcnt=0wait for global read before writing to local
_ds_store_b128 v[vgprLocalWriteAddrB], v[vgprG2LB+12:vgprG2LB+12+3] offset:12288 // lwoB_0_0_3_0 = (0*LSCB) + (3*LSPB)(*MT1J+PAD) = 12288
v_mfma_f64_16x16x4f64 a[56+0:63+0], v[vgprValuB_X1_I0+0+0+0+2:vgprValuB_X1_I0+0+0+0+2+1], v[90:91], a[56:63]
 // Ci += -Ar*Bi
/*  mfmaIndex:84  */

/* local write swap offsets a */

/* local write swap offsets b */
v_mfma_f64_16x16x4f64 a[32+0:39+0], v[vgprValuB_X1_I0+4+0+0:vgprValuB_X1_I0+4+0+0+1], v[vgprValuA_X1_I0+4+0+0:vgprValuA_X1_I0+4+0+0+1], a[32:39]
 // Cr += Ar*Br
/*  mfmaIndex:85  */
v_mfma_f64_16x16x4f64 a[80+0:87+0], v[vgprValuB_X1_I0+4+0+0:vgprValuB_X1_I0+4+0+0+1], v[88:89], a[80:87]
 // Ci += -Ai*Br
s_setprio 0                                        // store optimization
/*  mfmaIndex:86  */
s_waitcnt lgkmcnt(0)                               // lgkmcnt=0 vmcnt=-13wait for local write
// Skip force waitcnt0
s_barrier //
v_mfma_f64_16x16x4f64 a[32+0:39+0], v[vgprValuB_X1_I0+4+0+0+2:vgprValuB_X1_I0+4+0+0+2+1], v[88:89], a[32:39]
 // Cr += -Ai*Bi
/*  mfmaIndex:87  */
s_setprio 3                                        // store optimization
_ds_load_b128 v[vgprValuA_X0_I0+0:vgprValuA_X0_I0+0+3], v[vgprLocalReadAddrA] offset:0 // L -> Reg lro=0 swapByteOffset=0 ti=32 vIdx=0 rIdx=0 oIdx=0 buffer=0 iui=0
v_mfma_f64_16x16x4f64 a[80+0:87+0], v[vgprValuB_X1_I0+4+0+0+2:vgprValuB_X1_I0+4+0+0+2+1], v[90:91], a[80:87]
 // Ci += -Ar*Bi
/*  mfmaIndex:88  */
_ds_load_b128 v[vgprValuB_X0_I0+0:vgprValuB_X0_I0+0+3], v[vgprLocalReadAddrB] offset:0 // L -> Reg lro=0 swapByteOffset=0 ti=32 vIdx=0 rIdx=0 oIdx=0 buffer=0 iui=0
v_add_f64 v[88:89], -v[vgprValuA_X1_I0+8+0+0+2:vgprValuA_X1_I0+8+0+0+2+1], 0 // Ai=-Ai
v_add_f64 v[90:91], -v[vgprValuA_X1_I0+8+0+0:vgprValuA_X1_I0+8+0+0+1], 0 // Ar=-Ar
v_mfma_f64_16x16x4f64 a[16+0:23+0], v[vgprValuB_X1_I0+0+0+0:vgprValuB_X1_I0+0+0+0+1], v[vgprValuA_X1_I0+8+0+0:vgprValuA_X1_I0+8+0+0+1], a[16:23]
 // Cr += Ar*Br
/*  mfmaIndex:89  */
_ds_load_b128 v[vgprValuA_X0_I0+4:vgprValuA_X0_I0+4+3], v[vgprLocalReadAddrA] offset:10240 // L -> Reg lro=0 swapByteOffset=0 ti=32 vIdx=1 rIdx=0 oIdx=0 buffer=0 iui=0
v_mfma_f64_16x16x4f64 a[64+0:71+0], v[vgprValuB_X1_I0+0+0+0:vgprValuB_X1_I0+0+0+0+1], v[88:89], a[64:71]
 // Ci += -Ai*Br
/*  mfmaIndex:90  */
_ds_load_b128 v[vgprValuA_X0_I0+8:vgprValuA_X0_I0+8+3], v[vgprLocalReadAddrA] offset:20480 // L -> Reg lro=0 swapByteOffset=0 ti=32 vIdx=2 rIdx=0 oIdx=0 buffer=0 iui=0
v_mfma_f64_16x16x4f64 a[16+0:23+0], v[vgprValuB_X1_I0+0+0+0+2:vgprValuB_X1_I0+0+0+0+2+1], v[88:89], a[16:23]
 // Cr += -Ai*Bi
/*  mfmaIndex:91  */
_ds_load_b128 v[vgprValuB_X0_I0+4:vgprValuB_X0_I0+4+3], v[vgprLocalReadAddrB] offset:512 // L -> Reg lro=0 swapByteOffset=0 ti=32 vIdx=1 rIdx=0 oIdx=0 buffer=0 iui=0
v_mfma_f64_16x16x4f64 a[64+0:71+0], v[vgprValuB_X1_I0+0+0+0+2:vgprValuB_X1_I0+0+0+0+2+1], v[90:91], a[64:71]
 // Ci += -Ar*Bi
/*  mfmaIndex:92  */
v_mfma_f64_16x16x4f64 a[40+0:47+0], v[vgprValuB_X1_I0+4+0+0:vgprValuB_X1_I0+4+0+0+1], v[vgprValuA_X1_I0+8+0+0:vgprValuA_X1_I0+8+0+0+1], a[40:47]
 // Cr += Ar*Br
/*  mfmaIndex:93  */
v_mfma_f64_16x16x4f64 a[88+0:95+0], v[vgprValuB_X1_I0+4+0+0:vgprValuB_X1_I0+4+0+0+1], v[88:89], a[88:95]
 // Ci += -Ai*Br
/*  mfmaIndex:94  */
v_mfma_f64_16x16x4f64 a[40+0:47+0], v[vgprValuB_X1_I0+4+0+0+2:vgprValuB_X1_I0+4+0+0+2+1], v[88:89], a[40:47]
 // Cr += -Ai*Bi
/*  mfmaIndex:95  */
v_mfma_f64_16x16x4f64 a[88+0:95+0], v[vgprValuB_X1_I0+4+0+0+2:vgprValuB_X1_I0+4+0+0+2+1], v[90:91], a[88:95]
 // Ci += -Ar*Bi
s_setprio 0                                        // store optimization
/* numPrefetchIter=1 */
/* dataAtIterA=2 numReadsIterA=3 skipReadsIterA=1 readsPerIterA=3 */
/* dataAtIterB=2 numReadsIterB=3 skipReadsIterB=1 readsPerIterB=2 */

label_0014:


/******************************************/
/* Opt. NoLoadLoop Without PAP - Begin                                      */
/******************************************/

s_mov_b32 s68, s[sgprBeta+0]                       // tmp = Beta[0]
s_or_b32 s68, s[sgprBeta+1], s68                   // tmp |= Beta[1] 
s_or_b32 s68, s[sgprBeta+2], s68                   // tmp |= Beta[2] 
	;; [unrolled: 1-line block ×3, first 2 shown]
s_cmpk_eq_u32 s68, 0x0                             // Beta == 0
s_cbranch_scc0 OptNLL_End_17                       // Branch if Beta is not zero

s_mov_b32 s68, 0x00000000                          // lsb of real part of 1.0
s_mov_b32 s69, 0x3ff00000                          // msb of real part of 1.0
s_cmp_eq_u64 s[sgprAlpha:sgprAlpha+1], s[68:69]    // Alpha.real == 1.0 ?
s_cbranch_scc0 OptNLL_End_17                       // branch if alpha.real != 1
s_mov_b32 s68, 0x00000000                          // lsb of imag part of 0.0
s_mov_b32 s69, 0x00000000                          // msb of imag part of 0.0
s_cmp_eq_u64 s[sgprAlpha+2:sgprAlpha+2+1], s[68:69] // Alpha.imag == 0.0 ?
s_cbranch_scc0 OptNLL_End_17                       // branch if alpha != 1

s_mov_b32 s71, 0x0                                 // STATIC_DIV: divisior=96
s_mul_i32 s70, 0x555, s[sgprSizeI]                 // tmp1 = dividend * magic hi
s_lshl_b64 s[70:71], s[70:71], 0x10                // left shift 16 bits
s_mul_i32 s69, s[sgprSizeI], 0x5556                // tmp0 = dividend * magic lo
s_add_u32 s70, s69, s70                            // add lo
s_addc_u32 s71, s71, 0x0                           // add hi
s_lshr_b64 s[70:71], s[70:71], 0x21                // tmp1 = (dividend * magic) << shift
s_mov_b32 s69, s70                                 // quotient
s_mul_i32 s70, s69, 0x60                           // quotient*divisor
s_sub_u32 s68, s[sgprSizeI], s70                   // rReg = dividend - quotient*divisor
s_add_u32 s69, -0x1, s[sgprNumWorkGroups0]         // 
s_cmp_ge_u32 s[sgprWorkGroup0], s69                // wg0 >= nwg0-1 ?
s_cselect_b32 s68, s68, 0                          // set rMT0
s_cmpk_gt_u32 s68, 0x0                             // rMT0 > 0
s_cbranch_scc1 OptNLL_End_17                       // jump if edges required
s_and_b32 s68, 63, s[sgprSizeJ]                    // s68 = s[sgprSizeJ] % 64
s_add_u32 s69, -0x1, s[sgprNumWorkGroups1]         // 
s_cmp_ge_u32 s[sgprWorkGroup1], s69                // wg1 >= nwg1-1
s_cselect_b32 s68, s68, 0                          // set rMT1
s_cmpk_gt_u32 s68, 0x0                             // rMT1 > 0
s_cbranch_scc1 OptNLL_End_17                       // jump if edges required


	;; [unrolled: 1-line block ×3, first 2 shown]
/* Tail Loop in NoLoadLoop */
//numIterL = (((sizeL % LOCAL_DEPTHU) + LOCAL_SPLITU - 1) / LOCAL_SPLITU)
s_and_b32 s[sgprLoopCounterL], 15, s[sgprSizesSum+0] // s[sgprLoopCounterL] = s[sgprSizesSum+0] % 16
s_cmp_eq_u32 s[sgprLoopCounterL], 0x0              // numIterL == 0
s_cmov_b32 s[sgprLoopCounterL], 0x10               // Convert 0 to DepthU in tail loop NLL case


	;; [unrolled: 1-line block ×3, first 2 shown]
/* iter 0 (last unrolled loop) */

/*  grEndMfmaIndex:0, lwStartMfmaIndex:84, lwEndMfmaIndex:84  */
/*  numMfmaForLR:9, barrierMfmaIndex:86, LocalWritePerMfma:0.375 */
/*  mfmaIndex:0  */
s_waitcnt lgkmcnt(0)                               // lgkmcnt=0 vmcnt=-1wait for prior local read local write old=0, new=0 newLW=0 newLR=0

/* tail loop mfma iter 0: numReadsIterCoalescedA=1, numReadsIterCoalescedB=1 */
v_and_b32 v87, 63, v[vgprSerial]                   // v87 = v[vgprSerial] % 64
v_lshrrev_b32 v87, 4, v87                          // v87 = v87 / 16
                                                   // v87 = v87 * 1 (multiplier is 1, do nothing)
v_cmp_ge_i32 s[68:69], v87, s[sgprLoopCounterL]    // check K index >= Size L
v_cndmask_b32 v[vgprValuA_X0_I0+0+0+0+0], v[vgprValuA_X0_I0+0+0+0+0], 0x0, s[68:69] // set 0 if K_idx >= sizeL
v_cndmask_b32 v[vgprValuA_X0_I0+4+0+0+0], v[vgprValuA_X0_I0+4+0+0+0], 0x0, s[68:69] // set 0 if K_idx >= sizeL
	;; [unrolled: 1-line block ×12, first 2 shown]
s_nop 1
v_add_f64 v[88:89], -v[vgprValuA_X0_I0+0+0+0+2:vgprValuA_X0_I0+0+0+0+2+1], 0 // Ai=-Ai
v_add_f64 v[90:91], -v[vgprValuA_X0_I0+0+0+0:vgprValuA_X0_I0+0+0+0+1], 0 // Ar=-Ar
v_mfma_f64_16x16x4f64 a[0+0:7+0], v[vgprValuB_X0_I0+0+0+0:vgprValuB_X0_I0+0+0+0+1], v[vgprValuA_X0_I0+0+0+0:vgprValuA_X0_I0+0+0+0+1], a[0:7]
 // Cr += Ar*Br
/*  mfmaIndex:1  */
_ds_load_b128 v[vgprValuA_X1_I0+0:vgprValuA_X1_I0+0+3], v[vgprLocalReadAddrA] offset:64 // L -> Reg lro=4 swapByteOffset=0 ti=32 vIdx=0 rIdx=0 oIdx=0 buffer=1 iui=0
v_mfma_f64_16x16x4f64 a[48+0:55+0], v[vgprValuB_X0_I0+0+0+0:vgprValuB_X0_I0+0+0+0+1], v[88:89], a[48:55]
 // Ci += -Ai*Br
/*  mfmaIndex:2  */
_ds_load_b128 v[vgprValuB_X1_I0+0:vgprValuB_X1_I0+0+3], v[vgprLocalReadAddrB] offset:4096 // L -> Reg lro=256 swapByteOffset=0 ti=32 vIdx=0 rIdx=0 oIdx=0 buffer=1 iui=0
v_mfma_f64_16x16x4f64 a[0+0:7+0], v[vgprValuB_X0_I0+0+0+0+2:vgprValuB_X0_I0+0+0+0+2+1], v[88:89], a[0:7]
 // Cr += -Ai*Bi
/*  mfmaIndex:3  */
_ds_load_b128 v[vgprValuA_X1_I0+4:vgprValuA_X1_I0+4+3], v[vgprLocalReadAddrA] offset:10304 // L -> Reg lro=4 swapByteOffset=0 ti=32 vIdx=1 rIdx=0 oIdx=0 buffer=1 iui=0
v_mfma_f64_16x16x4f64 a[48+0:55+0], v[vgprValuB_X0_I0+0+0+0+2:vgprValuB_X0_I0+0+0+0+2+1], v[90:91], a[48:55]
 // Ci += -Ar*Bi
/*  mfmaIndex:4  */
_ds_load_b128 v[vgprValuA_X1_I0+8:vgprValuA_X1_I0+8+3], v[vgprLocalReadAddrA] offset:20544 // L -> Reg lro=4 swapByteOffset=0 ti=32 vIdx=2 rIdx=0 oIdx=0 buffer=1 iui=0
v_mfma_f64_16x16x4f64 a[24+0:31+0], v[vgprValuB_X0_I0+4+0+0:vgprValuB_X0_I0+4+0+0+1], v[vgprValuA_X0_I0+0+0+0:vgprValuA_X0_I0+0+0+0+1], a[24:31]
 // Cr += Ar*Br
/*  mfmaIndex:5  */
_ds_load_b128 v[vgprValuB_X1_I0+4:vgprValuB_X1_I0+4+3], v[vgprLocalReadAddrB] offset:4608 // L -> Reg lro=256 swapByteOffset=0 ti=32 vIdx=1 rIdx=0 oIdx=0 buffer=1 iui=0
/* localReadsVacancy: latencyLeft 1 */
v_mfma_f64_16x16x4f64 a[72+0:79+0], v[vgprValuB_X0_I0+4+0+0:vgprValuB_X0_I0+4+0+0+1], v[88:89], a[72:79]
 // Ci += -Ai*Br
/*  mfmaIndex:6  */
/* localReadsVacancy: latencyLeft 5 */
v_mfma_f64_16x16x4f64 a[24+0:31+0], v[vgprValuB_X0_I0+4+0+0+2:vgprValuB_X0_I0+4+0+0+2+1], v[88:89], a[24:31]
 // Cr += -Ai*Bi
/*  mfmaIndex:7  */
/* localReadsVacancy: latencyLeft 5 */
v_mfma_f64_16x16x4f64 a[72+0:79+0], v[vgprValuB_X0_I0+4+0+0+2:vgprValuB_X0_I0+4+0+0+2+1], v[90:91], a[72:79]
 // Ci += -Ar*Bi
/*  mfmaIndex:8  */
/* localReadsVacancy: latencyLeft 5 */
v_add_f64 v[88:89], -v[vgprValuA_X0_I0+4+0+0+2:vgprValuA_X0_I0+4+0+0+2+1], 0 // Ai=-Ai
v_add_f64 v[90:91], -v[vgprValuA_X0_I0+4+0+0:vgprValuA_X0_I0+4+0+0+1], 0 // Ar=-Ar
v_mfma_f64_16x16x4f64 a[8+0:15+0], v[vgprValuB_X0_I0+0+0+0:vgprValuB_X0_I0+0+0+0+1], v[vgprValuA_X0_I0+4+0+0:vgprValuA_X0_I0+4+0+0+1], a[8:15]
 // Cr += Ar*Br
/*  mfmaIndex:9  */
/* localReadsVacancy: latencyLeft 5 */
v_mfma_f64_16x16x4f64 a[56+0:63+0], v[vgprValuB_X0_I0+0+0+0:vgprValuB_X0_I0+0+0+0+1], v[88:89], a[56:63]
 // Ci += -Ai*Br
/*  mfmaIndex:10  */
/* localReadsVacancy: latencyLeft 5 */
v_mfma_f64_16x16x4f64 a[8+0:15+0], v[vgprValuB_X0_I0+0+0+0+2:vgprValuB_X0_I0+0+0+0+2+1], v[88:89], a[8:15]
 // Cr += -Ai*Bi
/*  mfmaIndex:11  */
/* localReadsVacancy: latencyLeft 5 */
v_mfma_f64_16x16x4f64 a[56+0:63+0], v[vgprValuB_X0_I0+0+0+0+2:vgprValuB_X0_I0+0+0+0+2+1], v[90:91], a[56:63]
 // Ci += -Ar*Bi
/*  mfmaIndex:12  */
/* localReadsVacancy: latencyLeft 5 */
v_mfma_f64_16x16x4f64 a[32+0:39+0], v[vgprValuB_X0_I0+4+0+0:vgprValuB_X0_I0+4+0+0+1], v[vgprValuA_X0_I0+4+0+0:vgprValuA_X0_I0+4+0+0+1], a[32:39]
 // Cr += Ar*Br
/*  mfmaIndex:13  */
/* localReadsVacancy: latencyLeft 5 */
v_mfma_f64_16x16x4f64 a[80+0:87+0], v[vgprValuB_X0_I0+4+0+0:vgprValuB_X0_I0+4+0+0+1], v[88:89], a[80:87]
 // Ci += -Ai*Br
/*  mfmaIndex:14  */
/* localReadsVacancy: latencyLeft 5 */
v_mfma_f64_16x16x4f64 a[32+0:39+0], v[vgprValuB_X0_I0+4+0+0+2:vgprValuB_X0_I0+4+0+0+2+1], v[88:89], a[32:39]
 // Cr += -Ai*Bi
/*  mfmaIndex:15  */
/* localReadsVacancy: latencyLeft 5 */
v_mfma_f64_16x16x4f64 a[80+0:87+0], v[vgprValuB_X0_I0+4+0+0+2:vgprValuB_X0_I0+4+0+0+2+1], v[90:91], a[80:87]
 // Ci += -Ar*Bi
/*  mfmaIndex:16  */
/* localReadsVacancy: latencyLeft 5 */
v_add_f64 v[88:89], -v[vgprValuA_X0_I0+8+0+0+2:vgprValuA_X0_I0+8+0+0+2+1], 0 // Ai=-Ai
v_add_f64 v[90:91], -v[vgprValuA_X0_I0+8+0+0:vgprValuA_X0_I0+8+0+0+1], 0 // Ar=-Ar
v_mfma_f64_16x16x4f64 a[16+0:23+0], v[vgprValuB_X0_I0+0+0+0:vgprValuB_X0_I0+0+0+0+1], v[vgprValuA_X0_I0+8+0+0:vgprValuA_X0_I0+8+0+0+1], a[16:23]
 // Cr += Ar*Br
/*  mfmaIndex:17  */
/* localReadsVacancy: latencyLeft 5 */
v_mfma_f64_16x16x4f64 a[64+0:71+0], v[vgprValuB_X0_I0+0+0+0:vgprValuB_X0_I0+0+0+0+1], v[88:89], a[64:71]
 // Ci += -Ai*Br
/*  mfmaIndex:18  */
/* localReadsVacancy: latencyLeft 5 */
v_mfma_f64_16x16x4f64 a[16+0:23+0], v[vgprValuB_X0_I0+0+0+0+2:vgprValuB_X0_I0+0+0+0+2+1], v[88:89], a[16:23]
 // Cr += -Ai*Bi
/*  mfmaIndex:19  */
/* localReadsVacancy: latencyLeft 5 */
v_mfma_f64_16x16x4f64 a[64+0:71+0], v[vgprValuB_X0_I0+0+0+0+2:vgprValuB_X0_I0+0+0+0+2+1], v[90:91], a[64:71]
 // Ci += -Ar*Bi
/*  mfmaIndex:20  */
/* localReadsVacancy: latencyLeft 5 */
v_mfma_f64_16x16x4f64 a[40+0:47+0], v[vgprValuB_X0_I0+4+0+0:vgprValuB_X0_I0+4+0+0+1], v[vgprValuA_X0_I0+8+0+0:vgprValuA_X0_I0+8+0+0+1], a[40:47]
 // Cr += Ar*Br
/*  mfmaIndex:21  */
/* localReadsVacancy: latencyLeft 5 */
v_mfma_f64_16x16x4f64 a[88+0:95+0], v[vgprValuB_X0_I0+4+0+0:vgprValuB_X0_I0+4+0+0+1], v[88:89], a[88:95]
 // Ci += -Ai*Br
/*  mfmaIndex:22  */
/* localReadsVacancy: latencyLeft 5 */
v_mfma_f64_16x16x4f64 a[40+0:47+0], v[vgprValuB_X0_I0+4+0+0+2:vgprValuB_X0_I0+4+0+0+2+1], v[88:89], a[40:47]
 // Cr += -Ai*Bi
/*  mfmaIndex:23  */
/* localReadsVacancy: latencyLeft 5 */
v_mfma_f64_16x16x4f64 a[88+0:95+0], v[vgprValuB_X0_I0+4+0+0+2:vgprValuB_X0_I0+4+0+0+2+1], v[90:91], a[88:95]
 // Ci += -Ar*Bi
/* numPrefetchIter=0 */
/* dataAtIterA=-1 numReadsIterA=1 skipReadsIterA=1 readsPerIterA=3 */
/* dataAtIterB=-1 numReadsIterB=1 skipReadsIterB=1 readsPerIterB=2 */


/* closeLoop loopL finalLoop=0 tailLoop=1 */
s_sub_i32 s[sgprLoopCounterL], s[sgprLoopCounterL], 0x4 // dec counterL (tailLoop)
s_add_u32 s[sgprOrigLoopCounter], s[sgprOrigLoopCounter], 0x4 // inc counterL
s_cmp_le_i32 s[sgprLoopCounterL], 0x0              // counterL<=0
s_cbranch_scc1 TailLoopEndL_OptNLL_19              // exit LoopL


/* iter 1 (last unrolled loop) */

/*  grEndMfmaIndex:0, lwStartMfmaIndex:84, lwEndMfmaIndex:84  */
/*  numMfmaForLR:9, barrierMfmaIndex:86, LocalWritePerMfma:0.375 */
/*  mfmaIndex:24  */
_ds_load_b128 v[vgprValuA_X0_I0+0:vgprValuA_X0_I0+0+3], v[vgprLocalReadAddrA] offset:128 // L -> Reg lro=8 swapByteOffset=0 ti=32 vIdx=0 rIdx=0 oIdx=0 buffer=0 iui=0
s_waitcnt lgkmcnt(1)                               // lgkmcnt=0 vmcnt=-1wait for prior local read local write old=0, new=1 newLW=0 newLR=1

/* tail loop mfma iter 1: numReadsIterCoalescedA=1, numReadsIterCoalescedB=1 */
v_and_b32 v87, 63, v[vgprSerial]                   // v87 = v[vgprSerial] % 64
v_lshrrev_b32 v87, 4, v87                          // v87 = v87 / 16
                                                   // v87 = v87 * 1 (multiplier is 1, do nothing)
v_cmp_ge_i32 s[68:69], v87, s[sgprLoopCounterL]    // check K index >= Size L
v_cndmask_b32 v[vgprValuA_X1_I0+0+0+0+0], v[vgprValuA_X1_I0+0+0+0+0], 0x0, s[68:69] // set 0 if K_idx >= sizeL
v_cndmask_b32 v[vgprValuA_X1_I0+4+0+0+0], v[vgprValuA_X1_I0+4+0+0+0], 0x0, s[68:69] // set 0 if K_idx >= sizeL
	;; [unrolled: 1-line block ×12, first 2 shown]
s_nop 1
v_add_f64 v[88:89], -v[vgprValuA_X1_I0+0+0+0+2:vgprValuA_X1_I0+0+0+0+2+1], 0 // Ai=-Ai
v_add_f64 v[90:91], -v[vgprValuA_X1_I0+0+0+0:vgprValuA_X1_I0+0+0+0+1], 0 // Ar=-Ar
v_mfma_f64_16x16x4f64 a[0+0:7+0], v[vgprValuB_X1_I0+0+0+0:vgprValuB_X1_I0+0+0+0+1], v[vgprValuA_X1_I0+0+0+0:vgprValuA_X1_I0+0+0+0+1], a[0:7]
 // Cr += Ar*Br
/*  mfmaIndex:25  */
_ds_load_b128 v[vgprValuB_X0_I0+0:vgprValuB_X0_I0+0+3], v[vgprLocalReadAddrB] offset:8192 // L -> Reg lro=512 swapByteOffset=0 ti=32 vIdx=0 rIdx=0 oIdx=0 buffer=0 iui=0
v_mfma_f64_16x16x4f64 a[48+0:55+0], v[vgprValuB_X1_I0+0+0+0:vgprValuB_X1_I0+0+0+0+1], v[88:89], a[48:55]
 // Ci += -Ai*Br
/*  mfmaIndex:26  */
_ds_load_b128 v[vgprValuA_X0_I0+4:vgprValuA_X0_I0+4+3], v[vgprLocalReadAddrA] offset:10368 // L -> Reg lro=8 swapByteOffset=0 ti=32 vIdx=1 rIdx=0 oIdx=0 buffer=0 iui=0
v_mfma_f64_16x16x4f64 a[0+0:7+0], v[vgprValuB_X1_I0+0+0+0+2:vgprValuB_X1_I0+0+0+0+2+1], v[88:89], a[0:7]
 // Cr += -Ai*Bi
/*  mfmaIndex:27  */
_ds_load_b128 v[vgprValuA_X0_I0+8:vgprValuA_X0_I0+8+3], v[vgprLocalReadAddrA] offset:20608 // L -> Reg lro=8 swapByteOffset=0 ti=32 vIdx=2 rIdx=0 oIdx=0 buffer=0 iui=0
v_mfma_f64_16x16x4f64 a[48+0:55+0], v[vgprValuB_X1_I0+0+0+0+2:vgprValuB_X1_I0+0+0+0+2+1], v[90:91], a[48:55]
 // Ci += -Ar*Bi
/*  mfmaIndex:28  */
_ds_load_b128 v[vgprValuB_X0_I0+4:vgprValuB_X0_I0+4+3], v[vgprLocalReadAddrB] offset:8704 // L -> Reg lro=512 swapByteOffset=0 ti=32 vIdx=1 rIdx=0 oIdx=0 buffer=0 iui=0
/* localReadsVacancy: latencyLeft 1 */
v_mfma_f64_16x16x4f64 a[24+0:31+0], v[vgprValuB_X1_I0+4+0+0:vgprValuB_X1_I0+4+0+0+1], v[vgprValuA_X1_I0+0+0+0:vgprValuA_X1_I0+0+0+0+1], a[24:31]
 // Cr += Ar*Br
/*  mfmaIndex:29  */
/* localReadsVacancy: latencyLeft 5 */
v_mfma_f64_16x16x4f64 a[72+0:79+0], v[vgprValuB_X1_I0+4+0+0:vgprValuB_X1_I0+4+0+0+1], v[88:89], a[72:79]
 // Ci += -Ai*Br
/*  mfmaIndex:30  */
/* localReadsVacancy: latencyLeft 5 */
v_mfma_f64_16x16x4f64 a[24+0:31+0], v[vgprValuB_X1_I0+4+0+0+2:vgprValuB_X1_I0+4+0+0+2+1], v[88:89], a[24:31]
 // Cr += -Ai*Bi
/*  mfmaIndex:31  */
/* localReadsVacancy: latencyLeft 5 */
v_mfma_f64_16x16x4f64 a[72+0:79+0], v[vgprValuB_X1_I0+4+0+0+2:vgprValuB_X1_I0+4+0+0+2+1], v[90:91], a[72:79]
 // Ci += -Ar*Bi
/*  mfmaIndex:32  */
/* localReadsVacancy: latencyLeft 5 */
v_add_f64 v[88:89], -v[vgprValuA_X1_I0+4+0+0+2:vgprValuA_X1_I0+4+0+0+2+1], 0 // Ai=-Ai
v_add_f64 v[90:91], -v[vgprValuA_X1_I0+4+0+0:vgprValuA_X1_I0+4+0+0+1], 0 // Ar=-Ar
v_mfma_f64_16x16x4f64 a[8+0:15+0], v[vgprValuB_X1_I0+0+0+0:vgprValuB_X1_I0+0+0+0+1], v[vgprValuA_X1_I0+4+0+0:vgprValuA_X1_I0+4+0+0+1], a[8:15]
 // Cr += Ar*Br
/*  mfmaIndex:33  */
/* localReadsVacancy: latencyLeft 5 */
v_mfma_f64_16x16x4f64 a[56+0:63+0], v[vgprValuB_X1_I0+0+0+0:vgprValuB_X1_I0+0+0+0+1], v[88:89], a[56:63]
 // Ci += -Ai*Br
/*  mfmaIndex:34  */
/* localReadsVacancy: latencyLeft 5 */
v_mfma_f64_16x16x4f64 a[8+0:15+0], v[vgprValuB_X1_I0+0+0+0+2:vgprValuB_X1_I0+0+0+0+2+1], v[88:89], a[8:15]
 // Cr += -Ai*Bi
/*  mfmaIndex:35  */
/* localReadsVacancy: latencyLeft 5 */
v_mfma_f64_16x16x4f64 a[56+0:63+0], v[vgprValuB_X1_I0+0+0+0+2:vgprValuB_X1_I0+0+0+0+2+1], v[90:91], a[56:63]
 // Ci += -Ar*Bi
/*  mfmaIndex:36  */
/* localReadsVacancy: latencyLeft 5 */
v_mfma_f64_16x16x4f64 a[32+0:39+0], v[vgprValuB_X1_I0+4+0+0:vgprValuB_X1_I0+4+0+0+1], v[vgprValuA_X1_I0+4+0+0:vgprValuA_X1_I0+4+0+0+1], a[32:39]
 // Cr += Ar*Br
/*  mfmaIndex:37  */
/* localReadsVacancy: latencyLeft 5 */
v_mfma_f64_16x16x4f64 a[80+0:87+0], v[vgprValuB_X1_I0+4+0+0:vgprValuB_X1_I0+4+0+0+1], v[88:89], a[80:87]
 // Ci += -Ai*Br
/*  mfmaIndex:38  */
/* localReadsVacancy: latencyLeft 5 */
v_mfma_f64_16x16x4f64 a[32+0:39+0], v[vgprValuB_X1_I0+4+0+0+2:vgprValuB_X1_I0+4+0+0+2+1], v[88:89], a[32:39]
 // Cr += -Ai*Bi
/*  mfmaIndex:39  */
/* localReadsVacancy: latencyLeft 5 */
v_mfma_f64_16x16x4f64 a[80+0:87+0], v[vgprValuB_X1_I0+4+0+0+2:vgprValuB_X1_I0+4+0+0+2+1], v[90:91], a[80:87]
 // Ci += -Ar*Bi
/*  mfmaIndex:40  */
/* localReadsVacancy: latencyLeft 5 */
v_add_f64 v[88:89], -v[vgprValuA_X1_I0+8+0+0+2:vgprValuA_X1_I0+8+0+0+2+1], 0 // Ai=-Ai
v_add_f64 v[90:91], -v[vgprValuA_X1_I0+8+0+0:vgprValuA_X1_I0+8+0+0+1], 0 // Ar=-Ar
v_mfma_f64_16x16x4f64 a[16+0:23+0], v[vgprValuB_X1_I0+0+0+0:vgprValuB_X1_I0+0+0+0+1], v[vgprValuA_X1_I0+8+0+0:vgprValuA_X1_I0+8+0+0+1], a[16:23]
 // Cr += Ar*Br
/*  mfmaIndex:41  */
/* localReadsVacancy: latencyLeft 5 */
v_mfma_f64_16x16x4f64 a[64+0:71+0], v[vgprValuB_X1_I0+0+0+0:vgprValuB_X1_I0+0+0+0+1], v[88:89], a[64:71]
 // Ci += -Ai*Br
/*  mfmaIndex:42  */
/* localReadsVacancy: latencyLeft 5 */
v_mfma_f64_16x16x4f64 a[16+0:23+0], v[vgprValuB_X1_I0+0+0+0+2:vgprValuB_X1_I0+0+0+0+2+1], v[88:89], a[16:23]
 // Cr += -Ai*Bi
/*  mfmaIndex:43  */
/* localReadsVacancy: latencyLeft 5 */
v_mfma_f64_16x16x4f64 a[64+0:71+0], v[vgprValuB_X1_I0+0+0+0+2:vgprValuB_X1_I0+0+0+0+2+1], v[90:91], a[64:71]
 // Ci += -Ar*Bi
/*  mfmaIndex:44  */
/* localReadsVacancy: latencyLeft 5 */
v_mfma_f64_16x16x4f64 a[40+0:47+0], v[vgprValuB_X1_I0+4+0+0:vgprValuB_X1_I0+4+0+0+1], v[vgprValuA_X1_I0+8+0+0:vgprValuA_X1_I0+8+0+0+1], a[40:47]
 // Cr += Ar*Br
/*  mfmaIndex:45  */
/* localReadsVacancy: latencyLeft 5 */
v_mfma_f64_16x16x4f64 a[88+0:95+0], v[vgprValuB_X1_I0+4+0+0:vgprValuB_X1_I0+4+0+0+1], v[88:89], a[88:95]
 // Ci += -Ai*Br
/*  mfmaIndex:46  */
/* localReadsVacancy: latencyLeft 5 */
v_mfma_f64_16x16x4f64 a[40+0:47+0], v[vgprValuB_X1_I0+4+0+0+2:vgprValuB_X1_I0+4+0+0+2+1], v[88:89], a[40:47]
 // Cr += -Ai*Bi
/*  mfmaIndex:47  */
/* localReadsVacancy: latencyLeft 5 */
v_mfma_f64_16x16x4f64 a[88+0:95+0], v[vgprValuB_X1_I0+4+0+0+2:vgprValuB_X1_I0+4+0+0+2+1], v[90:91], a[88:95]
 // Ci += -Ar*Bi
/* numPrefetchIter=0 */
/* dataAtIterA=0 numReadsIterA=2 skipReadsIterA=1 readsPerIterA=3 */
/* dataAtIterB=0 numReadsIterB=2 skipReadsIterB=1 readsPerIterB=2 */


/* closeLoop loopL finalLoop=0 tailLoop=1 */
s_sub_i32 s[sgprLoopCounterL], s[sgprLoopCounterL], 0x4 // dec counterL (tailLoop)
s_add_u32 s[sgprOrigLoopCounter], s[sgprOrigLoopCounter], 0x4 // inc counterL
s_cmp_le_i32 s[sgprLoopCounterL], 0x0              // counterL<=0
s_cbranch_scc1 TailLoopEndL_OptNLL_19              // exit LoopL


/* iter 2 (last unrolled loop) */

/*  grEndMfmaIndex:0, lwStartMfmaIndex:84, lwEndMfmaIndex:84  */
/*  numMfmaForLR:9, barrierMfmaIndex:86, LocalWritePerMfma:0.375 */
/*  mfmaIndex:48  */
_ds_load_b128 v[vgprValuA_X1_I0+0:vgprValuA_X1_I0+0+3], v[vgprLocalReadAddrA] offset:192 // L -> Reg lro=12 swapByteOffset=0 ti=32 vIdx=0 rIdx=0 oIdx=0 buffer=1 iui=0
s_waitcnt lgkmcnt(1)                               // lgkmcnt=0 vmcnt=-1wait for prior local read local write old=0, new=1 newLW=0 newLR=1

/* tail loop mfma iter 2: numReadsIterCoalescedA=1, numReadsIterCoalescedB=1 */
v_and_b32 v87, 63, v[vgprSerial]                   // v87 = v[vgprSerial] % 64
v_lshrrev_b32 v87, 4, v87                          // v87 = v87 / 16
                                                   // v87 = v87 * 1 (multiplier is 1, do nothing)
v_cmp_ge_i32 s[68:69], v87, s[sgprLoopCounterL]    // check K index >= Size L
v_cndmask_b32 v[vgprValuA_X0_I0+0+0+0+0], v[vgprValuA_X0_I0+0+0+0+0], 0x0, s[68:69] // set 0 if K_idx >= sizeL
v_cndmask_b32 v[vgprValuA_X0_I0+4+0+0+0], v[vgprValuA_X0_I0+4+0+0+0], 0x0, s[68:69] // set 0 if K_idx >= sizeL
	;; [unrolled: 1-line block ×12, first 2 shown]
s_nop 1
v_add_f64 v[88:89], -v[vgprValuA_X0_I0+0+0+0+2:vgprValuA_X0_I0+0+0+0+2+1], 0 // Ai=-Ai
v_add_f64 v[90:91], -v[vgprValuA_X0_I0+0+0+0:vgprValuA_X0_I0+0+0+0+1], 0 // Ar=-Ar
v_mfma_f64_16x16x4f64 a[0+0:7+0], v[vgprValuB_X0_I0+0+0+0:vgprValuB_X0_I0+0+0+0+1], v[vgprValuA_X0_I0+0+0+0:vgprValuA_X0_I0+0+0+0+1], a[0:7]
 // Cr += Ar*Br
/*  mfmaIndex:49  */
_ds_load_b128 v[vgprValuB_X1_I0+0:vgprValuB_X1_I0+0+3], v[vgprLocalReadAddrB] offset:12288 // L -> Reg lro=768 swapByteOffset=0 ti=32 vIdx=0 rIdx=0 oIdx=0 buffer=1 iui=0
v_mfma_f64_16x16x4f64 a[48+0:55+0], v[vgprValuB_X0_I0+0+0+0:vgprValuB_X0_I0+0+0+0+1], v[88:89], a[48:55]
 // Ci += -Ai*Br
/*  mfmaIndex:50  */
_ds_load_b128 v[vgprValuA_X1_I0+4:vgprValuA_X1_I0+4+3], v[vgprLocalReadAddrA] offset:10432 // L -> Reg lro=12 swapByteOffset=0 ti=32 vIdx=1 rIdx=0 oIdx=0 buffer=1 iui=0
v_mfma_f64_16x16x4f64 a[0+0:7+0], v[vgprValuB_X0_I0+0+0+0+2:vgprValuB_X0_I0+0+0+0+2+1], v[88:89], a[0:7]
 // Cr += -Ai*Bi
/*  mfmaIndex:51  */
_ds_load_b128 v[vgprValuA_X1_I0+8:vgprValuA_X1_I0+8+3], v[vgprLocalReadAddrA] offset:20672 // L -> Reg lro=12 swapByteOffset=0 ti=32 vIdx=2 rIdx=0 oIdx=0 buffer=1 iui=0
v_mfma_f64_16x16x4f64 a[48+0:55+0], v[vgprValuB_X0_I0+0+0+0+2:vgprValuB_X0_I0+0+0+0+2+1], v[90:91], a[48:55]
 // Ci += -Ar*Bi
/*  mfmaIndex:52  */
_ds_load_b128 v[vgprValuB_X1_I0+4:vgprValuB_X1_I0+4+3], v[vgprLocalReadAddrB] offset:12800 // L -> Reg lro=768 swapByteOffset=0 ti=32 vIdx=1 rIdx=0 oIdx=0 buffer=1 iui=0
/* localReadsVacancy: latencyLeft 1 */
v_mfma_f64_16x16x4f64 a[24+0:31+0], v[vgprValuB_X0_I0+4+0+0:vgprValuB_X0_I0+4+0+0+1], v[vgprValuA_X0_I0+0+0+0:vgprValuA_X0_I0+0+0+0+1], a[24:31]
 // Cr += Ar*Br
/*  mfmaIndex:53  */
/* localReadsVacancy: latencyLeft 5 */
v_mfma_f64_16x16x4f64 a[72+0:79+0], v[vgprValuB_X0_I0+4+0+0:vgprValuB_X0_I0+4+0+0+1], v[88:89], a[72:79]
 // Ci += -Ai*Br
/*  mfmaIndex:54  */
/* localReadsVacancy: latencyLeft 5 */
v_mfma_f64_16x16x4f64 a[24+0:31+0], v[vgprValuB_X0_I0+4+0+0+2:vgprValuB_X0_I0+4+0+0+2+1], v[88:89], a[24:31]
 // Cr += -Ai*Bi
/*  mfmaIndex:55  */
/* localReadsVacancy: latencyLeft 5 */
v_mfma_f64_16x16x4f64 a[72+0:79+0], v[vgprValuB_X0_I0+4+0+0+2:vgprValuB_X0_I0+4+0+0+2+1], v[90:91], a[72:79]
 // Ci += -Ar*Bi
/*  mfmaIndex:56  */
/* localReadsVacancy: latencyLeft 5 */
v_add_f64 v[88:89], -v[vgprValuA_X0_I0+4+0+0+2:vgprValuA_X0_I0+4+0+0+2+1], 0 // Ai=-Ai
v_add_f64 v[90:91], -v[vgprValuA_X0_I0+4+0+0:vgprValuA_X0_I0+4+0+0+1], 0 // Ar=-Ar
v_mfma_f64_16x16x4f64 a[8+0:15+0], v[vgprValuB_X0_I0+0+0+0:vgprValuB_X0_I0+0+0+0+1], v[vgprValuA_X0_I0+4+0+0:vgprValuA_X0_I0+4+0+0+1], a[8:15]
 // Cr += Ar*Br
/*  mfmaIndex:57  */
/* localReadsVacancy: latencyLeft 5 */
v_mfma_f64_16x16x4f64 a[56+0:63+0], v[vgprValuB_X0_I0+0+0+0:vgprValuB_X0_I0+0+0+0+1], v[88:89], a[56:63]
 // Ci += -Ai*Br
/*  mfmaIndex:58  */
/* localReadsVacancy: latencyLeft 5 */
v_mfma_f64_16x16x4f64 a[8+0:15+0], v[vgprValuB_X0_I0+0+0+0+2:vgprValuB_X0_I0+0+0+0+2+1], v[88:89], a[8:15]
 // Cr += -Ai*Bi
/*  mfmaIndex:59  */
/* localReadsVacancy: latencyLeft 5 */
v_mfma_f64_16x16x4f64 a[56+0:63+0], v[vgprValuB_X0_I0+0+0+0+2:vgprValuB_X0_I0+0+0+0+2+1], v[90:91], a[56:63]
 // Ci += -Ar*Bi
/*  mfmaIndex:60  */
/* localReadsVacancy: latencyLeft 5 */
v_mfma_f64_16x16x4f64 a[32+0:39+0], v[vgprValuB_X0_I0+4+0+0:vgprValuB_X0_I0+4+0+0+1], v[vgprValuA_X0_I0+4+0+0:vgprValuA_X0_I0+4+0+0+1], a[32:39]
 // Cr += Ar*Br
/*  mfmaIndex:61  */
/* localReadsVacancy: latencyLeft 5 */
v_mfma_f64_16x16x4f64 a[80+0:87+0], v[vgprValuB_X0_I0+4+0+0:vgprValuB_X0_I0+4+0+0+1], v[88:89], a[80:87]
 // Ci += -Ai*Br
/*  mfmaIndex:62  */
/* localReadsVacancy: latencyLeft 5 */
v_mfma_f64_16x16x4f64 a[32+0:39+0], v[vgprValuB_X0_I0+4+0+0+2:vgprValuB_X0_I0+4+0+0+2+1], v[88:89], a[32:39]
 // Cr += -Ai*Bi
/*  mfmaIndex:63  */
/* localReadsVacancy: latencyLeft 5 */
v_mfma_f64_16x16x4f64 a[80+0:87+0], v[vgprValuB_X0_I0+4+0+0+2:vgprValuB_X0_I0+4+0+0+2+1], v[90:91], a[80:87]
 // Ci += -Ar*Bi
/*  mfmaIndex:64  */
/* localReadsVacancy: latencyLeft 5 */
v_add_f64 v[88:89], -v[vgprValuA_X0_I0+8+0+0+2:vgprValuA_X0_I0+8+0+0+2+1], 0 // Ai=-Ai
v_add_f64 v[90:91], -v[vgprValuA_X0_I0+8+0+0:vgprValuA_X0_I0+8+0+0+1], 0 // Ar=-Ar
v_mfma_f64_16x16x4f64 a[16+0:23+0], v[vgprValuB_X0_I0+0+0+0:vgprValuB_X0_I0+0+0+0+1], v[vgprValuA_X0_I0+8+0+0:vgprValuA_X0_I0+8+0+0+1], a[16:23]
 // Cr += Ar*Br
/*  mfmaIndex:65  */
/* localReadsVacancy: latencyLeft 5 */
v_mfma_f64_16x16x4f64 a[64+0:71+0], v[vgprValuB_X0_I0+0+0+0:vgprValuB_X0_I0+0+0+0+1], v[88:89], a[64:71]
 // Ci += -Ai*Br
/*  mfmaIndex:66  */
/* localReadsVacancy: latencyLeft 5 */
v_mfma_f64_16x16x4f64 a[16+0:23+0], v[vgprValuB_X0_I0+0+0+0+2:vgprValuB_X0_I0+0+0+0+2+1], v[88:89], a[16:23]
 // Cr += -Ai*Bi
/*  mfmaIndex:67  */
/* localReadsVacancy: latencyLeft 5 */
v_mfma_f64_16x16x4f64 a[64+0:71+0], v[vgprValuB_X0_I0+0+0+0+2:vgprValuB_X0_I0+0+0+0+2+1], v[90:91], a[64:71]
 // Ci += -Ar*Bi
/*  mfmaIndex:68  */
/* localReadsVacancy: latencyLeft 5 */
v_mfma_f64_16x16x4f64 a[40+0:47+0], v[vgprValuB_X0_I0+4+0+0:vgprValuB_X0_I0+4+0+0+1], v[vgprValuA_X0_I0+8+0+0:vgprValuA_X0_I0+8+0+0+1], a[40:47]
 // Cr += Ar*Br
/*  mfmaIndex:69  */
/* localReadsVacancy: latencyLeft 5 */
v_mfma_f64_16x16x4f64 a[88+0:95+0], v[vgprValuB_X0_I0+4+0+0:vgprValuB_X0_I0+4+0+0+1], v[88:89], a[88:95]
 // Ci += -Ai*Br
/*  mfmaIndex:70  */
/* localReadsVacancy: latencyLeft 5 */
v_mfma_f64_16x16x4f64 a[40+0:47+0], v[vgprValuB_X0_I0+4+0+0+2:vgprValuB_X0_I0+4+0+0+2+1], v[88:89], a[40:47]
 // Cr += -Ai*Bi
/*  mfmaIndex:71  */
/* localReadsVacancy: latencyLeft 5 */
v_mfma_f64_16x16x4f64 a[88+0:95+0], v[vgprValuB_X0_I0+4+0+0+2:vgprValuB_X0_I0+4+0+0+2+1], v[90:91], a[88:95]
 // Ci += -Ar*Bi
/* numPrefetchIter=0 */
/* dataAtIterA=1 numReadsIterA=3 skipReadsIterA=1 readsPerIterA=3 */
/* dataAtIterB=1 numReadsIterB=3 skipReadsIterB=1 readsPerIterB=2 */


/* closeLoop loopL finalLoop=0 tailLoop=1 */
s_sub_i32 s[sgprLoopCounterL], s[sgprLoopCounterL], 0x4 // dec counterL (tailLoop)
s_add_u32 s[sgprOrigLoopCounter], s[sgprOrigLoopCounter], 0x4 // inc counterL
s_cmp_le_i32 s[sgprLoopCounterL], 0x0              // counterL<=0
s_cbranch_scc1 TailLoopEndL_OptNLL_19              // exit LoopL


/* iter 3 (last unrolled loop) */

/*  grEndMfmaIndex:0, lwStartMfmaIndex:84, lwEndMfmaIndex:84  */
/*  numMfmaForLR:9, barrierMfmaIndex:86, LocalWritePerMfma:0.375 */
/*  mfmaIndex:72  */
s_waitcnt lgkmcnt(0)                               // lgkmcnt=0 vmcnt=-1wait for prior local read local write old=0, new=0 newLW=0 newLR=0

/* tail loop mfma iter 3: numReadsIterCoalescedA=1, numReadsIterCoalescedB=1 */
v_and_b32 v87, 63, v[vgprSerial]                   // v87 = v[vgprSerial] % 64
v_lshrrev_b32 v87, 4, v87                          // v87 = v87 / 16
                                                   // v87 = v87 * 1 (multiplier is 1, do nothing)
v_cmp_ge_i32 s[68:69], v87, s[sgprLoopCounterL]    // check K index >= Size L
v_cndmask_b32 v[vgprValuA_X1_I0+0+0+0+0], v[vgprValuA_X1_I0+0+0+0+0], 0x0, s[68:69] // set 0 if K_idx >= sizeL
v_cndmask_b32 v[vgprValuA_X1_I0+4+0+0+0], v[vgprValuA_X1_I0+4+0+0+0], 0x0, s[68:69] // set 0 if K_idx >= sizeL
v_cndmask_b32 v[vgprValuA_X1_I0+8+0+0+0], v[vgprValuA_X1_I0+8+0+0+0], 0x0, s[68:69] // set 0 if K_idx >= sizeL
v_cndmask_b32 v[vgprValuA_X1_I0+0+0+0+1], v[vgprValuA_X1_I0+0+0+0+1], 0x0, s[68:69] // set 0 if K_idx >= sizeL
v_cndmask_b32 v[vgprValuA_X1_I0+4+0+0+1], v[vgprValuA_X1_I0+4+0+0+1], 0x0, s[68:69] // set 0 if K_idx >= sizeL
v_cndmask_b32 v[vgprValuA_X1_I0+8+0+0+1], v[vgprValuA_X1_I0+8+0+0+1], 0x0, s[68:69] // set 0 if K_idx >= sizeL
v_cndmask_b32 v[vgprValuA_X1_I0+0+0+0+2], v[vgprValuA_X1_I0+0+0+0+2], 0x0, s[68:69] // set 0 if K_idx >= sizeL
v_cndmask_b32 v[vgprValuA_X1_I0+4+0+0+2], v[vgprValuA_X1_I0+4+0+0+2], 0x0, s[68:69] // set 0 if K_idx >= sizeL
v_cndmask_b32 v[vgprValuA_X1_I0+8+0+0+2], v[vgprValuA_X1_I0+8+0+0+2], 0x0, s[68:69] // set 0 if K_idx >= sizeL
v_cndmask_b32 v[vgprValuA_X1_I0+0+0+0+3], v[vgprValuA_X1_I0+0+0+0+3], 0x0, s[68:69] // set 0 if K_idx >= sizeL
v_cndmask_b32 v[vgprValuA_X1_I0+4+0+0+3], v[vgprValuA_X1_I0+4+0+0+3], 0x0, s[68:69] // set 0 if K_idx >= sizeL
v_cndmask_b32 v[vgprValuA_X1_I0+8+0+0+3], v[vgprValuA_X1_I0+8+0+0+3], 0x0, s[68:69] // set 0 if K_idx >= sizeL
s_nop 1
v_add_f64 v[88:89], -v[vgprValuA_X1_I0+0+0+0+2:vgprValuA_X1_I0+0+0+0+2+1], 0 // Ai=-Ai
v_add_f64 v[90:91], -v[vgprValuA_X1_I0+0+0+0:vgprValuA_X1_I0+0+0+0+1], 0 // Ar=-Ar
v_mfma_f64_16x16x4f64 a[0+0:7+0], v[vgprValuB_X1_I0+0+0+0:vgprValuB_X1_I0+0+0+0+1], v[vgprValuA_X1_I0+0+0+0:vgprValuA_X1_I0+0+0+0+1], a[0:7]
 // Cr += Ar*Br
/*  mfmaIndex:73  */
v_mfma_f64_16x16x4f64 a[48+0:55+0], v[vgprValuB_X1_I0+0+0+0:vgprValuB_X1_I0+0+0+0+1], v[88:89], a[48:55]
 // Ci += -Ai*Br
/*  mfmaIndex:74  */
v_mfma_f64_16x16x4f64 a[0+0:7+0], v[vgprValuB_X1_I0+0+0+0+2:vgprValuB_X1_I0+0+0+0+2+1], v[88:89], a[0:7]
 // Cr += -Ai*Bi
/*  mfmaIndex:75  */
v_mfma_f64_16x16x4f64 a[48+0:55+0], v[vgprValuB_X1_I0+0+0+0+2:vgprValuB_X1_I0+0+0+0+2+1], v[90:91], a[48:55]
 // Ci += -Ar*Bi
/*  mfmaIndex:76  */
v_mfma_f64_16x16x4f64 a[24+0:31+0], v[vgprValuB_X1_I0+4+0+0:vgprValuB_X1_I0+4+0+0+1], v[vgprValuA_X1_I0+0+0+0:vgprValuA_X1_I0+0+0+0+1], a[24:31]
 // Cr += Ar*Br
/*  mfmaIndex:77  */
v_mfma_f64_16x16x4f64 a[72+0:79+0], v[vgprValuB_X1_I0+4+0+0:vgprValuB_X1_I0+4+0+0+1], v[88:89], a[72:79]
 // Ci += -Ai*Br
/*  mfmaIndex:78  */
v_mfma_f64_16x16x4f64 a[24+0:31+0], v[vgprValuB_X1_I0+4+0+0+2:vgprValuB_X1_I0+4+0+0+2+1], v[88:89], a[24:31]
 // Cr += -Ai*Bi
/*  mfmaIndex:79  */
v_mfma_f64_16x16x4f64 a[72+0:79+0], v[vgprValuB_X1_I0+4+0+0+2:vgprValuB_X1_I0+4+0+0+2+1], v[90:91], a[72:79]
 // Ci += -Ar*Bi
/*  mfmaIndex:80  */
v_add_f64 v[88:89], -v[vgprValuA_X1_I0+4+0+0+2:vgprValuA_X1_I0+4+0+0+2+1], 0 // Ai=-Ai
v_add_f64 v[90:91], -v[vgprValuA_X1_I0+4+0+0:vgprValuA_X1_I0+4+0+0+1], 0 // Ar=-Ar
v_mfma_f64_16x16x4f64 a[8+0:15+0], v[vgprValuB_X1_I0+0+0+0:vgprValuB_X1_I0+0+0+0+1], v[vgprValuA_X1_I0+4+0+0:vgprValuA_X1_I0+4+0+0+1], a[8:15]
 // Cr += Ar*Br
/*  mfmaIndex:81  */
v_mfma_f64_16x16x4f64 a[56+0:63+0], v[vgprValuB_X1_I0+0+0+0:vgprValuB_X1_I0+0+0+0+1], v[88:89], a[56:63]
 // Ci += -Ai*Br
/*  mfmaIndex:82  */
v_mfma_f64_16x16x4f64 a[8+0:15+0], v[vgprValuB_X1_I0+0+0+0+2:vgprValuB_X1_I0+0+0+0+2+1], v[88:89], a[8:15]
 // Cr += -Ai*Bi
/*  mfmaIndex:83  */
/* 1 LDS buffer: read-sync-write */
s_waitcnt lgkmcnt(0)                               // 
s_barrier                                          // 
v_mfma_f64_16x16x4f64 a[56+0:63+0], v[vgprValuB_X1_I0+0+0+0+2:vgprValuB_X1_I0+0+0+0+2+1], v[90:91], a[56:63]
 // Ci += -Ar*Bi
/*  mfmaIndex:84  */
s_setprio 3                                        // store optimization
v_mfma_f64_16x16x4f64 a[32+0:39+0], v[vgprValuB_X1_I0+4+0+0:vgprValuB_X1_I0+4+0+0+1], v[vgprValuA_X1_I0+4+0+0:vgprValuA_X1_I0+4+0+0+1], a[32:39]
 // Cr += Ar*Br
/*  mfmaIndex:85  */
v_mfma_f64_16x16x4f64 a[80+0:87+0], v[vgprValuB_X1_I0+4+0+0:vgprValuB_X1_I0+4+0+0+1], v[88:89], a[80:87]
 // Ci += -Ai*Br
s_setprio 0                                        // store optimization
/*  mfmaIndex:86  */
v_mfma_f64_16x16x4f64 a[32+0:39+0], v[vgprValuB_X1_I0+4+0+0+2:vgprValuB_X1_I0+4+0+0+2+1], v[88:89], a[32:39]
 // Cr += -Ai*Bi
/*  mfmaIndex:87  */
s_setprio 3                                        // store optimization
v_mfma_f64_16x16x4f64 a[80+0:87+0], v[vgprValuB_X1_I0+4+0+0+2:vgprValuB_X1_I0+4+0+0+2+1], v[90:91], a[80:87]
 // Ci += -Ar*Bi
/*  mfmaIndex:88  */
v_add_f64 v[88:89], -v[vgprValuA_X1_I0+8+0+0+2:vgprValuA_X1_I0+8+0+0+2+1], 0 // Ai=-Ai
v_add_f64 v[90:91], -v[vgprValuA_X1_I0+8+0+0:vgprValuA_X1_I0+8+0+0+1], 0 // Ar=-Ar
v_mfma_f64_16x16x4f64 a[16+0:23+0], v[vgprValuB_X1_I0+0+0+0:vgprValuB_X1_I0+0+0+0+1], v[vgprValuA_X1_I0+8+0+0:vgprValuA_X1_I0+8+0+0+1], a[16:23]
 // Cr += Ar*Br
/*  mfmaIndex:89  */
v_mfma_f64_16x16x4f64 a[64+0:71+0], v[vgprValuB_X1_I0+0+0+0:vgprValuB_X1_I0+0+0+0+1], v[88:89], a[64:71]
 // Ci += -Ai*Br
/*  mfmaIndex:90  */
v_mfma_f64_16x16x4f64 a[16+0:23+0], v[vgprValuB_X1_I0+0+0+0+2:vgprValuB_X1_I0+0+0+0+2+1], v[88:89], a[16:23]
 // Cr += -Ai*Bi
/*  mfmaIndex:91  */
v_mfma_f64_16x16x4f64 a[64+0:71+0], v[vgprValuB_X1_I0+0+0+0+2:vgprValuB_X1_I0+0+0+0+2+1], v[90:91], a[64:71]
 // Ci += -Ar*Bi
/*  mfmaIndex:92  */
v_mfma_f64_16x16x4f64 a[40+0:47+0], v[vgprValuB_X1_I0+4+0+0:vgprValuB_X1_I0+4+0+0+1], v[vgprValuA_X1_I0+8+0+0:vgprValuA_X1_I0+8+0+0+1], a[40:47]
 // Cr += Ar*Br
/*  mfmaIndex:93  */
v_mfma_f64_16x16x4f64 a[88+0:95+0], v[vgprValuB_X1_I0+4+0+0:vgprValuB_X1_I0+4+0+0+1], v[88:89], a[88:95]
 // Ci += -Ai*Br
/*  mfmaIndex:94  */
v_mfma_f64_16x16x4f64 a[40+0:47+0], v[vgprValuB_X1_I0+4+0+0+2:vgprValuB_X1_I0+4+0+0+2+1], v[88:89], a[40:47]
 // Cr += -Ai*Bi
/*  mfmaIndex:95  */
v_mfma_f64_16x16x4f64 a[88+0:95+0], v[vgprValuB_X1_I0+4+0+0+2:vgprValuB_X1_I0+4+0+0+2+1], v[90:91], a[88:95]
 // Ci += -Ar*Bi
/* numPrefetchIter=0 */
/* dataAtIterA=2 numReadsIterA=3 skipReadsIterA=0 readsPerIterA=3 */
/* dataAtIterB=2 numReadsIterB=3 skipReadsIterB=0 readsPerIterB=2 */

TailLoopEndL_OptNLL_19:

s_waitcnt lgkmcnt(0)                               // lgkmcnt=0 vmcnt=-113wait for remaining local read for tail loop in NLL

/* Stores for OptNLL */
Summation_End_OptNLL_22:
s_setprio 0                                        // optimization store
/* endSummation: add vgpr [0...84) to pool */
.set NumFullBlocks, UNDEF
.set WgmRemainder1, UNDEF
.set MagicNumberWgmRemainder1, UNDEF
.set ScalarGlobalReadOffsetB, UNDEF

/* Mapping of Acc register -> C Vgpr register */
/* computeStoreVgprs */
v_lshrrev_b32 v4, 6, v[vgprSerial]                 // v4 = v[vgprSerial] / 64
v_and_b32 v1, 63, v[vgprSerial]                    // v1 = v[vgprSerial] % 64
v_lshrrev_b32 v1, 4, v1                            // v1 = v1 / 16
                                                   // thread0 * continuous_output (multiplier is 1, do nothing)
v_lshrrev_b32 v5, 1, v4                            // v5 = v4 / 2
v_mul_lo_u32 v5, 0x10, v5                          // wave coordination offset 1
_v_add_lshl_u32 v1, v5, v1, 0                      // coordination 1 = vwb *(wave_id1 + tid1)
v_mul_lo_u32 v2, v1, s[sgprStrideC1J]              //  offset 1
v_mul_lo_u32 v3, v1, s[sgprStrideD1J]              //  offset 1
v_and_b32 v5, 1, v4                                // v5 = v4 % 2
v_mul_lo_u32 v5, 0x10, v5                          // wave coordination offset 0
v_and_b32 v0, 15, v[vgprSerial]                    // v0 = v[vgprSerial] % 16
_v_add_lshl_u32 v0, v5, v0, 0                      // coordination 0 = vwa *(wave_id0 + tid0)
s_mul_i32 s58, 96, s[sgprWorkGroup0]               // wgp0 * MT0
_v_add_u32 v0, s58, v0                             // coord 0 = (tid0/MI_m)*4 + waveG0*MIB_m + MT0*SG0
s_mul_i32 s58, 64, s[sgprWorkGroup1]               // wgp1 * MT1
_v_add_u32 v1, s58, v1                             // coord 1 = (tid0%MI_m) + waveG1*MIB_n + MT1*SG1
GW_B0_E0_25:

/* edge=0, allocate 2 sgpr. perBatchTmpS=2 perBatchMaskS=0 perElementMaskS=0 elementsPerBatch=61 */
/* optSingleColVgpr=1 optSharedColVgpr=0 optSGPRUsage=BufferLoad_Mask optSrdIncForRow=1 */
s_sleep 3 // optimization: sync and wait
s_barrier

/******************************************/
/* Global Write Batch #0 (d1,d0,vc1,vc0) = */
/*    (0,0,0,0:vw1); (0,1,0,0:vw1); (0,2,0,0:vw1); (1,0,0,0:vw1); (1,1,0,0:vw1); (1,2,0,0:vw1); (2,0,0,0:vw1); (2,1,0,0:vw1); (2,2,0,0:vw1); (3,0,0,0:vw1); (3,1,0,0:vw1); (3,2,0,0:vw1); (4,0,0,0:vw1); (4,1,0,0:vw1); (4,2,0,0:vw1); (5,0,0,0:vw1); (5,1,0,0:vw1); (5,2,0,0:vw1); (6,0,0,0:vw1); (6,1,0,0:vw1); (6,2,0,0:vw1); (7,0,0,0:vw1); (7,1,0,0:vw1); (7,2,0,0:vw1) */
/******************************************/

/* calc coords, apply mask, and issue loads (if necessary) */
/* (d1,vc1,d0,vc0)=(0,0,0,0) */
/* (d1,vc1,d0,vc0)=(0,0,1,0) */
	;; [unrolled: 1-line block ×24, first 2 shown]
_v_add_lshl_u32 v6, v3, v0, 0x4                    // optSingleColVgpr scaleToBpe: sharedAddrVgpr <- cinRowPtr + coord0, scaled by BPE. BSHERE:coord0=0, coord0Vgpr=0
v_accvgpr_read_b32 v[vgprValuC+8], acc0 // copy acc to vreg[0]
v_accvgpr_read_b32 v[vgprValuC+9], acc1 // copy acc to vreg[1]
v_accvgpr_read_b32 v[vgprValuC+10], acc48 // copy acc to vreg[2]
v_accvgpr_read_b32 v[vgprValuC+11], acc49 // copy acc to vreg[3]
v_accvgpr_read_b32 v[vgprValuC+12], acc8 // copy acc to vreg[4]
v_accvgpr_read_b32 v[vgprValuC+13], acc9 // copy acc to vreg[5]
v_accvgpr_read_b32 v[vgprValuC+14], acc56 // copy acc to vreg[6]
v_accvgpr_read_b32 v[vgprValuC+15], acc57 // copy acc to vreg[7]
v_accvgpr_read_b32 v[vgprValuC+16], acc16 // copy acc to vreg[8]
v_accvgpr_read_b32 v[vgprValuC+17], acc17 // copy acc to vreg[9]
v_accvgpr_read_b32 v[vgprValuC+18], acc64 // copy acc to vreg[10]
v_accvgpr_read_b32 v[vgprValuC+19], acc65 // copy acc to vreg[11]
v_accvgpr_read_b32 v[vgprValuC+20], acc2 // copy acc to vreg[12]
v_accvgpr_read_b32 v[vgprValuC+21], acc3 // copy acc to vreg[13]
v_accvgpr_read_b32 v[vgprValuC+22], acc50 // copy acc to vreg[14]
v_accvgpr_read_b32 v[vgprValuC+23], acc51 // copy acc to vreg[15]
v_accvgpr_read_b32 v[vgprValuC+24], acc10 // copy acc to vreg[16]
v_accvgpr_read_b32 v[vgprValuC+25], acc11 // copy acc to vreg[17]
v_accvgpr_read_b32 v[vgprValuC+26], acc58 // copy acc to vreg[18]
v_accvgpr_read_b32 v[vgprValuC+27], acc59 // copy acc to vreg[19]
v_accvgpr_read_b32 v[vgprValuC+28], acc18 // copy acc to vreg[20]
v_accvgpr_read_b32 v[vgprValuC+29], acc19 // copy acc to vreg[21]
v_accvgpr_read_b32 v[vgprValuC+30], acc66 // copy acc to vreg[22]
v_accvgpr_read_b32 v[vgprValuC+31], acc67 // copy acc to vreg[23]
v_accvgpr_read_b32 v[vgprValuC+32], acc4 // copy acc to vreg[24]
v_accvgpr_read_b32 v[vgprValuC+33], acc5 // copy acc to vreg[25]
v_accvgpr_read_b32 v[vgprValuC+34], acc52 // copy acc to vreg[26]
v_accvgpr_read_b32 v[vgprValuC+35], acc53 // copy acc to vreg[27]
v_accvgpr_read_b32 v[vgprValuC+36], acc12 // copy acc to vreg[28]
v_accvgpr_read_b32 v[vgprValuC+37], acc13 // copy acc to vreg[29]
v_accvgpr_read_b32 v[vgprValuC+38], acc60 // copy acc to vreg[30]
v_accvgpr_read_b32 v[vgprValuC+39], acc61 // copy acc to vreg[31]
v_accvgpr_read_b32 v[vgprValuC+40], acc20 // copy acc to vreg[32]
v_accvgpr_read_b32 v[vgprValuC+41], acc21 // copy acc to vreg[33]
v_accvgpr_read_b32 v[vgprValuC+42], acc68 // copy acc to vreg[34]
v_accvgpr_read_b32 v[vgprValuC+43], acc69 // copy acc to vreg[35]
v_accvgpr_read_b32 v[vgprValuC+44], acc6 // copy acc to vreg[36]
v_accvgpr_read_b32 v[vgprValuC+45], acc7 // copy acc to vreg[37]
v_accvgpr_read_b32 v[vgprValuC+46], acc54 // copy acc to vreg[38]
v_accvgpr_read_b32 v[vgprValuC+47], acc55 // copy acc to vreg[39]
v_accvgpr_read_b32 v[vgprValuC+48], acc14 // copy acc to vreg[40]
v_accvgpr_read_b32 v[vgprValuC+49], acc15 // copy acc to vreg[41]
v_accvgpr_read_b32 v[vgprValuC+50], acc62 // copy acc to vreg[42]
v_accvgpr_read_b32 v[vgprValuC+51], acc63 // copy acc to vreg[43]
v_accvgpr_read_b32 v[vgprValuC+52], acc22 // copy acc to vreg[44]
v_accvgpr_read_b32 v[vgprValuC+53], acc23 // copy acc to vreg[45]
v_accvgpr_read_b32 v[vgprValuC+54], acc70 // copy acc to vreg[46]
v_accvgpr_read_b32 v[vgprValuC+55], acc71 // copy acc to vreg[47]
v_accvgpr_read_b32 v[vgprValuC+56], acc24 // copy acc to vreg[48]
v_accvgpr_read_b32 v[vgprValuC+57], acc25 // copy acc to vreg[49]
v_accvgpr_read_b32 v[vgprValuC+58], acc72 // copy acc to vreg[50]
v_accvgpr_read_b32 v[vgprValuC+59], acc73 // copy acc to vreg[51]
v_accvgpr_read_b32 v[vgprValuC+60], acc32 // copy acc to vreg[52]
v_accvgpr_read_b32 v[vgprValuC+61], acc33 // copy acc to vreg[53]
v_accvgpr_read_b32 v[vgprValuC+62], acc80 // copy acc to vreg[54]
v_accvgpr_read_b32 v[vgprValuC+63], acc81 // copy acc to vreg[55]
v_accvgpr_read_b32 v[vgprValuC+64], acc40 // copy acc to vreg[56]
v_accvgpr_read_b32 v[vgprValuC+65], acc41 // copy acc to vreg[57]
v_accvgpr_read_b32 v[vgprValuC+66], acc88 // copy acc to vreg[58]
v_accvgpr_read_b32 v[vgprValuC+67], acc89 // copy acc to vreg[59]
v_accvgpr_read_b32 v[vgprValuC+68], acc26 // copy acc to vreg[60]
v_accvgpr_read_b32 v[vgprValuC+69], acc27 // copy acc to vreg[61]
v_accvgpr_read_b32 v[vgprValuC+70], acc74 // copy acc to vreg[62]
v_accvgpr_read_b32 v[vgprValuC+71], acc75 // copy acc to vreg[63]
v_accvgpr_read_b32 v[vgprValuC+72], acc34 // copy acc to vreg[64]
v_accvgpr_read_b32 v[vgprValuC+73], acc35 // copy acc to vreg[65]
v_accvgpr_read_b32 v[vgprValuC+74], acc82 // copy acc to vreg[66]
v_accvgpr_read_b32 v[vgprValuC+75], acc83 // copy acc to vreg[67]
v_accvgpr_read_b32 v[vgprValuC+76], acc42 // copy acc to vreg[68]
v_accvgpr_read_b32 v[vgprValuC+77], acc43 // copy acc to vreg[69]
v_accvgpr_read_b32 v[vgprValuC+78], acc90 // copy acc to vreg[70]
v_accvgpr_read_b32 v[vgprValuC+79], acc91 // copy acc to vreg[71]
v_accvgpr_read_b32 v[vgprValuC+80], acc28 // copy acc to vreg[72]
v_accvgpr_read_b32 v[vgprValuC+81], acc29 // copy acc to vreg[73]
v_accvgpr_read_b32 v[vgprValuC+82], acc76 // copy acc to vreg[74]
v_accvgpr_read_b32 v[vgprValuC+83], acc77 // copy acc to vreg[75]
v_accvgpr_read_b32 v[vgprValuC+88], acc36 // copy acc to vreg[76]
v_accvgpr_read_b32 v[vgprValuC+89], acc37 // copy acc to vreg[77]
v_accvgpr_read_b32 v[vgprValuC+90], acc84 // copy acc to vreg[78]
v_accvgpr_read_b32 v[vgprValuC+91], acc85 // copy acc to vreg[79]
v_accvgpr_read_b32 v[vgprValuC+92], acc44 // copy acc to vreg[80]
v_accvgpr_read_b32 v[vgprValuC+93], acc45 // copy acc to vreg[81]
v_accvgpr_read_b32 v[vgprValuC+94], acc92 // copy acc to vreg[82]
v_accvgpr_read_b32 v[vgprValuC+95], acc93 // copy acc to vreg[83]
v_accvgpr_read_b32 v[vgprValuC+96], acc30 // copy acc to vreg[84]
v_accvgpr_read_b32 v[vgprValuC+97], acc31 // copy acc to vreg[85]
v_accvgpr_read_b32 v[vgprValuC+98], acc78 // copy acc to vreg[86]
v_accvgpr_read_b32 v[vgprValuC+99], acc79 // copy acc to vreg[87]
v_accvgpr_read_b32 v[vgprValuC+100], acc38 // copy acc to vreg[88]
v_accvgpr_read_b32 v[vgprValuC+101], acc39 // copy acc to vreg[89]
v_accvgpr_read_b32 v[vgprValuC+102], acc86 // copy acc to vreg[90]
v_accvgpr_read_b32 v[vgprValuC+103], acc87 // copy acc to vreg[91]
v_accvgpr_read_b32 v[vgprValuC+104], acc46 // copy acc to vreg[92]
v_accvgpr_read_b32 v[vgprValuC+105], acc47 // copy acc to vreg[93]
v_accvgpr_read_b32 v[vgprValuC+106], acc94 // copy acc to vreg[94]
v_accvgpr_read_b32 v[vgprValuC+107], acc95 // copy acc to vreg[95]
s_nop 1                                            // 2 wait states required before reading vgpr

/* apply mask, calc new C and issue writes */
_buffer_store_b128 v[8:11], v6, s[sgprSrdD:sgprSrdD+3], 0, offen, offset:0,  glc slc // store D
_buffer_store_b128 v[12:15], v6, s[sgprSrdD:sgprSrdD+3], 0, offen, offset:512,  glc slc // store D
_buffer_store_b128 v[16:19], v6, s[sgprSrdD:sgprSrdD+3], 0, offen, offset:1024,  glc slc // store D
s_mul_i32 s58, s[sgprStrideD1J], 64                // scale StrideD *= numRows(4) * bpe
s_add_u32  s[sgprSrdD+0], s[sgprSrdD+0], s58       // incToNextRow: gra SRD += inc(lower)
s_addc_u32  s[sgprSrdD+1], s[sgprSrdD+1], 0        // incToNextRow: gra SRD += inc(upper)
_buffer_store_b128 v[20:23], v6, s[sgprSrdD:sgprSrdD+3], 0, offen, offset:0,  glc slc // store D
_buffer_store_b128 v[24:27], v6, s[sgprSrdD:sgprSrdD+3], 0, offen, offset:512,  glc slc // store D
_buffer_store_b128 v[28:31], v6, s[sgprSrdD:sgprSrdD+3], 0, offen, offset:1024,  glc slc // store D
s_mul_i32 s58, s[sgprStrideD1J], 64                // scale StrideD *= numRows(4) * bpe
s_add_u32  s[sgprSrdD+0], s[sgprSrdD+0], s58       // incToNextRow: gra SRD += inc(lower)
s_addc_u32  s[sgprSrdD+1], s[sgprSrdD+1], 0        // incToNextRow: gra SRD += inc(upper)
	;; [unrolled: 6-line block ×3, first 2 shown]
_buffer_store_b128 v[44:47], v6, s[sgprSrdD:sgprSrdD+3], 0, offen, offset:0,  glc slc // store D
_buffer_store_b128 v[48:51], v6, s[sgprSrdD:sgprSrdD+3], 0, offen, offset:512,  glc slc // store D
_buffer_store_b128 v[52:55], v6, s[sgprSrdD:sgprSrdD+3], 0, offen, offset:1024,  glc slc // store D
s_mul_i32 s58, s[sgprStrideD1J], 320               // scale StrideD *= numRows(20) * bpe
s_add_u32  s[sgprSrdD+0], s[sgprSrdD+0], s58       // incToNextRow: gra SRD += inc(lower)
s_addc_u32  s[sgprSrdD+1], s[sgprSrdD+1], 0        // incToNextRow: gra SRD += inc(upper)
_buffer_store_b128 v[56:59], v6, s[sgprSrdD:sgprSrdD+3], 0, offen, offset:0,  glc slc // store D
_buffer_store_b128 v[60:63], v6, s[sgprSrdD:sgprSrdD+3], 0, offen, offset:512,  glc slc // store D
_buffer_store_b128 v[64:67], v6, s[sgprSrdD:sgprSrdD+3], 0, offen, offset:1024,  glc slc // store D
s_mul_i32 s58, s[sgprStrideD1J], 64                // scale StrideD *= numRows(4) * bpe
s_add_u32  s[sgprSrdD+0], s[sgprSrdD+0], s58       // incToNextRow: gra SRD += inc(lower)
s_addc_u32  s[sgprSrdD+1], s[sgprSrdD+1], 0        // incToNextRow: gra SRD += inc(upper)
_buffer_store_b128 v[68:71], v6, s[sgprSrdD:sgprSrdD+3], 0, offen, offset:0,  glc slc // store D
_buffer_store_b128 v[72:75], v6, s[sgprSrdD:sgprSrdD+3], 0, offen, offset:512,  glc slc // store D
_buffer_store_b128 v[76:79], v6, s[sgprSrdD:sgprSrdD+3], 0, offen, offset:1024,  glc slc // store D
s_mul_i32 s58, s[sgprStrideD1J], 64                // scale StrideD *= numRows(4) * bpe
	;; [unrolled: 6-line block ×3, first 2 shown]
s_add_u32  s[sgprSrdD+0], s[sgprSrdD+0], s58       // incToNextRow: gra SRD += inc(lower)
s_addc_u32  s[sgprSrdD+1], s[sgprSrdD+1], 0        // incToNextRow: gra SRD += inc(upper)
_buffer_store_b128 v[96:99], v6, s[sgprSrdD:sgprSrdD+3], 0, offen, offset:0,  glc slc // store D
_buffer_store_b128 v[100:103], v6, s[sgprSrdD:sgprSrdD+3], 0, offen, offset:512,  glc slc // store D
	;; [unrolled: 1-line block ×3, first 2 shown]
s_nop 0                                            // 1 wait state required when next inst writes vgprs held by previous dwordx4 store inst
s_branch label_GW_End_27                           // jump to end
label_GW_End_27:

s_endpgm                                           // Kernel End
OptNLL_End_17:


/******************************************/
/* Ord. NoLoadLoop - Begin                                      */
/******************************************/


	;; [unrolled: 1-line block ×3, first 2 shown]
/* Tail Loop in NoLoadLoop */
//numIterL = (((sizeL % LOCAL_DEPTHU) + LOCAL_SPLITU - 1) / LOCAL_SPLITU)
s_and_b32 s[sgprLoopCounterL], 15, s[sgprSizesSum+0] // s[sgprLoopCounterL] = s[sgprSizesSum+0] % 16
s_cmp_eq_u32 s[sgprLoopCounterL], 0x0              // numIterL == 0
s_cmov_b32 s[sgprLoopCounterL], 0x10               // Convert 0 to DepthU in tail loop NLL case


	;; [unrolled: 1-line block ×3, first 2 shown]
/* iter 0 (last unrolled loop) */

/*  grEndMfmaIndex:0, lwStartMfmaIndex:84, lwEndMfmaIndex:84  */
/*  numMfmaForLR:9, barrierMfmaIndex:86, LocalWritePerMfma:0.375 */
/*  mfmaIndex:0  */
s_waitcnt lgkmcnt(0)                               // lgkmcnt=0 vmcnt=-1wait for prior local read local write old=0, new=0 newLW=0 newLR=0

/* tail loop mfma iter 0: numReadsIterCoalescedA=1, numReadsIterCoalescedB=1 */
v_and_b32 v87, 63, v[vgprSerial]                   // v87 = v[vgprSerial] % 64
v_lshrrev_b32 v87, 4, v87                          // v87 = v87 / 16
                                                   // v87 = v87 * 1 (multiplier is 1, do nothing)
v_cmp_ge_i32 s[68:69], v87, s[sgprLoopCounterL]    // check K index >= Size L
v_cndmask_b32 v[vgprValuA_X0_I0+0+0+0+0], v[vgprValuA_X0_I0+0+0+0+0], 0x0, s[68:69] // set 0 if K_idx >= sizeL
v_cndmask_b32 v[vgprValuA_X0_I0+4+0+0+0], v[vgprValuA_X0_I0+4+0+0+0], 0x0, s[68:69] // set 0 if K_idx >= sizeL
	;; [unrolled: 1-line block ×12, first 2 shown]
s_nop 1
v_add_f64 v[88:89], -v[vgprValuA_X0_I0+0+0+0+2:vgprValuA_X0_I0+0+0+0+2+1], 0 // Ai=-Ai
v_add_f64 v[90:91], -v[vgprValuA_X0_I0+0+0+0:vgprValuA_X0_I0+0+0+0+1], 0 // Ar=-Ar
v_mfma_f64_16x16x4f64 a[0+0:7+0], v[vgprValuB_X0_I0+0+0+0:vgprValuB_X0_I0+0+0+0+1], v[vgprValuA_X0_I0+0+0+0:vgprValuA_X0_I0+0+0+0+1], a[0:7]
 // Cr += Ar*Br
/*  mfmaIndex:1  */
_ds_load_b128 v[vgprValuA_X1_I0+0:vgprValuA_X1_I0+0+3], v[vgprLocalReadAddrA] offset:64 // L -> Reg lro=4 swapByteOffset=0 ti=32 vIdx=0 rIdx=0 oIdx=0 buffer=1 iui=0
v_mfma_f64_16x16x4f64 a[48+0:55+0], v[vgprValuB_X0_I0+0+0+0:vgprValuB_X0_I0+0+0+0+1], v[88:89], a[48:55]
 // Ci += -Ai*Br
/*  mfmaIndex:2  */
_ds_load_b128 v[vgprValuB_X1_I0+0:vgprValuB_X1_I0+0+3], v[vgprLocalReadAddrB] offset:4096 // L -> Reg lro=256 swapByteOffset=0 ti=32 vIdx=0 rIdx=0 oIdx=0 buffer=1 iui=0
v_mfma_f64_16x16x4f64 a[0+0:7+0], v[vgprValuB_X0_I0+0+0+0+2:vgprValuB_X0_I0+0+0+0+2+1], v[88:89], a[0:7]
 // Cr += -Ai*Bi
/*  mfmaIndex:3  */
_ds_load_b128 v[vgprValuA_X1_I0+4:vgprValuA_X1_I0+4+3], v[vgprLocalReadAddrA] offset:10304 // L -> Reg lro=4 swapByteOffset=0 ti=32 vIdx=1 rIdx=0 oIdx=0 buffer=1 iui=0
v_mfma_f64_16x16x4f64 a[48+0:55+0], v[vgprValuB_X0_I0+0+0+0+2:vgprValuB_X0_I0+0+0+0+2+1], v[90:91], a[48:55]
 // Ci += -Ar*Bi
/*  mfmaIndex:4  */
_ds_load_b128 v[vgprValuA_X1_I0+8:vgprValuA_X1_I0+8+3], v[vgprLocalReadAddrA] offset:20544 // L -> Reg lro=4 swapByteOffset=0 ti=32 vIdx=2 rIdx=0 oIdx=0 buffer=1 iui=0
v_mfma_f64_16x16x4f64 a[24+0:31+0], v[vgprValuB_X0_I0+4+0+0:vgprValuB_X0_I0+4+0+0+1], v[vgprValuA_X0_I0+0+0+0:vgprValuA_X0_I0+0+0+0+1], a[24:31]
 // Cr += Ar*Br
/*  mfmaIndex:5  */
_ds_load_b128 v[vgprValuB_X1_I0+4:vgprValuB_X1_I0+4+3], v[vgprLocalReadAddrB] offset:4608 // L -> Reg lro=256 swapByteOffset=0 ti=32 vIdx=1 rIdx=0 oIdx=0 buffer=1 iui=0
/* localReadsVacancy: latencyLeft 1 */
v_mfma_f64_16x16x4f64 a[72+0:79+0], v[vgprValuB_X0_I0+4+0+0:vgprValuB_X0_I0+4+0+0+1], v[88:89], a[72:79]
 // Ci += -Ai*Br
/*  mfmaIndex:6  */
/* localReadsVacancy: latencyLeft 5 */
v_mfma_f64_16x16x4f64 a[24+0:31+0], v[vgprValuB_X0_I0+4+0+0+2:vgprValuB_X0_I0+4+0+0+2+1], v[88:89], a[24:31]
 // Cr += -Ai*Bi
/*  mfmaIndex:7  */
/* localReadsVacancy: latencyLeft 5 */
v_mfma_f64_16x16x4f64 a[72+0:79+0], v[vgprValuB_X0_I0+4+0+0+2:vgprValuB_X0_I0+4+0+0+2+1], v[90:91], a[72:79]
 // Ci += -Ar*Bi
/*  mfmaIndex:8  */
/* localReadsVacancy: latencyLeft 5 */
v_add_f64 v[88:89], -v[vgprValuA_X0_I0+4+0+0+2:vgprValuA_X0_I0+4+0+0+2+1], 0 // Ai=-Ai
v_add_f64 v[90:91], -v[vgprValuA_X0_I0+4+0+0:vgprValuA_X0_I0+4+0+0+1], 0 // Ar=-Ar
v_mfma_f64_16x16x4f64 a[8+0:15+0], v[vgprValuB_X0_I0+0+0+0:vgprValuB_X0_I0+0+0+0+1], v[vgprValuA_X0_I0+4+0+0:vgprValuA_X0_I0+4+0+0+1], a[8:15]
 // Cr += Ar*Br
/*  mfmaIndex:9  */
/* localReadsVacancy: latencyLeft 5 */
v_mfma_f64_16x16x4f64 a[56+0:63+0], v[vgprValuB_X0_I0+0+0+0:vgprValuB_X0_I0+0+0+0+1], v[88:89], a[56:63]
 // Ci += -Ai*Br
/*  mfmaIndex:10  */
/* localReadsVacancy: latencyLeft 5 */
v_mfma_f64_16x16x4f64 a[8+0:15+0], v[vgprValuB_X0_I0+0+0+0+2:vgprValuB_X0_I0+0+0+0+2+1], v[88:89], a[8:15]
 // Cr += -Ai*Bi
/*  mfmaIndex:11  */
/* localReadsVacancy: latencyLeft 5 */
v_mfma_f64_16x16x4f64 a[56+0:63+0], v[vgprValuB_X0_I0+0+0+0+2:vgprValuB_X0_I0+0+0+0+2+1], v[90:91], a[56:63]
 // Ci += -Ar*Bi
/*  mfmaIndex:12  */
/* localReadsVacancy: latencyLeft 5 */
v_mfma_f64_16x16x4f64 a[32+0:39+0], v[vgprValuB_X0_I0+4+0+0:vgprValuB_X0_I0+4+0+0+1], v[vgprValuA_X0_I0+4+0+0:vgprValuA_X0_I0+4+0+0+1], a[32:39]
 // Cr += Ar*Br
/*  mfmaIndex:13  */
/* localReadsVacancy: latencyLeft 5 */
v_mfma_f64_16x16x4f64 a[80+0:87+0], v[vgprValuB_X0_I0+4+0+0:vgprValuB_X0_I0+4+0+0+1], v[88:89], a[80:87]
 // Ci += -Ai*Br
/*  mfmaIndex:14  */
/* localReadsVacancy: latencyLeft 5 */
v_mfma_f64_16x16x4f64 a[32+0:39+0], v[vgprValuB_X0_I0+4+0+0+2:vgprValuB_X0_I0+4+0+0+2+1], v[88:89], a[32:39]
 // Cr += -Ai*Bi
/*  mfmaIndex:15  */
/* localReadsVacancy: latencyLeft 5 */
v_mfma_f64_16x16x4f64 a[80+0:87+0], v[vgprValuB_X0_I0+4+0+0+2:vgprValuB_X0_I0+4+0+0+2+1], v[90:91], a[80:87]
 // Ci += -Ar*Bi
/*  mfmaIndex:16  */
/* localReadsVacancy: latencyLeft 5 */
v_add_f64 v[88:89], -v[vgprValuA_X0_I0+8+0+0+2:vgprValuA_X0_I0+8+0+0+2+1], 0 // Ai=-Ai
v_add_f64 v[90:91], -v[vgprValuA_X0_I0+8+0+0:vgprValuA_X0_I0+8+0+0+1], 0 // Ar=-Ar
v_mfma_f64_16x16x4f64 a[16+0:23+0], v[vgprValuB_X0_I0+0+0+0:vgprValuB_X0_I0+0+0+0+1], v[vgprValuA_X0_I0+8+0+0:vgprValuA_X0_I0+8+0+0+1], a[16:23]
 // Cr += Ar*Br
/*  mfmaIndex:17  */
/* localReadsVacancy: latencyLeft 5 */
v_mfma_f64_16x16x4f64 a[64+0:71+0], v[vgprValuB_X0_I0+0+0+0:vgprValuB_X0_I0+0+0+0+1], v[88:89], a[64:71]
 // Ci += -Ai*Br
/*  mfmaIndex:18  */
/* localReadsVacancy: latencyLeft 5 */
v_mfma_f64_16x16x4f64 a[16+0:23+0], v[vgprValuB_X0_I0+0+0+0+2:vgprValuB_X0_I0+0+0+0+2+1], v[88:89], a[16:23]
 // Cr += -Ai*Bi
/*  mfmaIndex:19  */
/* localReadsVacancy: latencyLeft 5 */
v_mfma_f64_16x16x4f64 a[64+0:71+0], v[vgprValuB_X0_I0+0+0+0+2:vgprValuB_X0_I0+0+0+0+2+1], v[90:91], a[64:71]
 // Ci += -Ar*Bi
/*  mfmaIndex:20  */
/* localReadsVacancy: latencyLeft 5 */
v_mfma_f64_16x16x4f64 a[40+0:47+0], v[vgprValuB_X0_I0+4+0+0:vgprValuB_X0_I0+4+0+0+1], v[vgprValuA_X0_I0+8+0+0:vgprValuA_X0_I0+8+0+0+1], a[40:47]
 // Cr += Ar*Br
/*  mfmaIndex:21  */
/* localReadsVacancy: latencyLeft 5 */
v_mfma_f64_16x16x4f64 a[88+0:95+0], v[vgprValuB_X0_I0+4+0+0:vgprValuB_X0_I0+4+0+0+1], v[88:89], a[88:95]
 // Ci += -Ai*Br
/*  mfmaIndex:22  */
/* localReadsVacancy: latencyLeft 5 */
v_mfma_f64_16x16x4f64 a[40+0:47+0], v[vgprValuB_X0_I0+4+0+0+2:vgprValuB_X0_I0+4+0+0+2+1], v[88:89], a[40:47]
 // Cr += -Ai*Bi
/*  mfmaIndex:23  */
/* localReadsVacancy: latencyLeft 5 */
v_mfma_f64_16x16x4f64 a[88+0:95+0], v[vgprValuB_X0_I0+4+0+0+2:vgprValuB_X0_I0+4+0+0+2+1], v[90:91], a[88:95]
 // Ci += -Ar*Bi
/* numPrefetchIter=0 */
/* dataAtIterA=-1 numReadsIterA=1 skipReadsIterA=1 readsPerIterA=3 */
/* dataAtIterB=-1 numReadsIterB=1 skipReadsIterB=1 readsPerIterB=2 */


/* closeLoop loopL finalLoop=0 tailLoop=1 */
s_sub_i32 s[sgprLoopCounterL], s[sgprLoopCounterL], 0x4 // dec counterL (tailLoop)
s_add_u32 s[sgprOrigLoopCounter], s[sgprOrigLoopCounter], 0x4 // inc counterL
s_cmp_le_i32 s[sgprLoopCounterL], 0x0              // counterL<=0
s_cbranch_scc1 TailLoopEndL_7                      // exit LoopL


/* iter 1 (last unrolled loop) */

/*  grEndMfmaIndex:0, lwStartMfmaIndex:84, lwEndMfmaIndex:84  */
/*  numMfmaForLR:9, barrierMfmaIndex:86, LocalWritePerMfma:0.375 */
/*  mfmaIndex:24  */
_ds_load_b128 v[vgprValuA_X0_I0+0:vgprValuA_X0_I0+0+3], v[vgprLocalReadAddrA] offset:128 // L -> Reg lro=8 swapByteOffset=0 ti=32 vIdx=0 rIdx=0 oIdx=0 buffer=0 iui=0
s_waitcnt lgkmcnt(1)                               // lgkmcnt=0 vmcnt=-1wait for prior local read local write old=0, new=1 newLW=0 newLR=1

/* tail loop mfma iter 1: numReadsIterCoalescedA=1, numReadsIterCoalescedB=1 */
v_and_b32 v87, 63, v[vgprSerial]                   // v87 = v[vgprSerial] % 64
v_lshrrev_b32 v87, 4, v87                          // v87 = v87 / 16
                                                   // v87 = v87 * 1 (multiplier is 1, do nothing)
v_cmp_ge_i32 s[68:69], v87, s[sgprLoopCounterL]    // check K index >= Size L
v_cndmask_b32 v[vgprValuA_X1_I0+0+0+0+0], v[vgprValuA_X1_I0+0+0+0+0], 0x0, s[68:69] // set 0 if K_idx >= sizeL
v_cndmask_b32 v[vgprValuA_X1_I0+4+0+0+0], v[vgprValuA_X1_I0+4+0+0+0], 0x0, s[68:69] // set 0 if K_idx >= sizeL
	;; [unrolled: 1-line block ×12, first 2 shown]
s_nop 1
v_add_f64 v[88:89], -v[vgprValuA_X1_I0+0+0+0+2:vgprValuA_X1_I0+0+0+0+2+1], 0 // Ai=-Ai
v_add_f64 v[90:91], -v[vgprValuA_X1_I0+0+0+0:vgprValuA_X1_I0+0+0+0+1], 0 // Ar=-Ar
v_mfma_f64_16x16x4f64 a[0+0:7+0], v[vgprValuB_X1_I0+0+0+0:vgprValuB_X1_I0+0+0+0+1], v[vgprValuA_X1_I0+0+0+0:vgprValuA_X1_I0+0+0+0+1], a[0:7]
 // Cr += Ar*Br
/*  mfmaIndex:25  */
_ds_load_b128 v[vgprValuB_X0_I0+0:vgprValuB_X0_I0+0+3], v[vgprLocalReadAddrB] offset:8192 // L -> Reg lro=512 swapByteOffset=0 ti=32 vIdx=0 rIdx=0 oIdx=0 buffer=0 iui=0
v_mfma_f64_16x16x4f64 a[48+0:55+0], v[vgprValuB_X1_I0+0+0+0:vgprValuB_X1_I0+0+0+0+1], v[88:89], a[48:55]
 // Ci += -Ai*Br
/*  mfmaIndex:26  */
_ds_load_b128 v[vgprValuA_X0_I0+4:vgprValuA_X0_I0+4+3], v[vgprLocalReadAddrA] offset:10368 // L -> Reg lro=8 swapByteOffset=0 ti=32 vIdx=1 rIdx=0 oIdx=0 buffer=0 iui=0
v_mfma_f64_16x16x4f64 a[0+0:7+0], v[vgprValuB_X1_I0+0+0+0+2:vgprValuB_X1_I0+0+0+0+2+1], v[88:89], a[0:7]
 // Cr += -Ai*Bi
/*  mfmaIndex:27  */
_ds_load_b128 v[vgprValuA_X0_I0+8:vgprValuA_X0_I0+8+3], v[vgprLocalReadAddrA] offset:20608 // L -> Reg lro=8 swapByteOffset=0 ti=32 vIdx=2 rIdx=0 oIdx=0 buffer=0 iui=0
v_mfma_f64_16x16x4f64 a[48+0:55+0], v[vgprValuB_X1_I0+0+0+0+2:vgprValuB_X1_I0+0+0+0+2+1], v[90:91], a[48:55]
 // Ci += -Ar*Bi
/*  mfmaIndex:28  */
_ds_load_b128 v[vgprValuB_X0_I0+4:vgprValuB_X0_I0+4+3], v[vgprLocalReadAddrB] offset:8704 // L -> Reg lro=512 swapByteOffset=0 ti=32 vIdx=1 rIdx=0 oIdx=0 buffer=0 iui=0
/* localReadsVacancy: latencyLeft 1 */
v_mfma_f64_16x16x4f64 a[24+0:31+0], v[vgprValuB_X1_I0+4+0+0:vgprValuB_X1_I0+4+0+0+1], v[vgprValuA_X1_I0+0+0+0:vgprValuA_X1_I0+0+0+0+1], a[24:31]
 // Cr += Ar*Br
/*  mfmaIndex:29  */
/* localReadsVacancy: latencyLeft 5 */
v_mfma_f64_16x16x4f64 a[72+0:79+0], v[vgprValuB_X1_I0+4+0+0:vgprValuB_X1_I0+4+0+0+1], v[88:89], a[72:79]
 // Ci += -Ai*Br
/*  mfmaIndex:30  */
/* localReadsVacancy: latencyLeft 5 */
v_mfma_f64_16x16x4f64 a[24+0:31+0], v[vgprValuB_X1_I0+4+0+0+2:vgprValuB_X1_I0+4+0+0+2+1], v[88:89], a[24:31]
 // Cr += -Ai*Bi
/*  mfmaIndex:31  */
/* localReadsVacancy: latencyLeft 5 */
v_mfma_f64_16x16x4f64 a[72+0:79+0], v[vgprValuB_X1_I0+4+0+0+2:vgprValuB_X1_I0+4+0+0+2+1], v[90:91], a[72:79]
 // Ci += -Ar*Bi
/*  mfmaIndex:32  */
/* localReadsVacancy: latencyLeft 5 */
v_add_f64 v[88:89], -v[vgprValuA_X1_I0+4+0+0+2:vgprValuA_X1_I0+4+0+0+2+1], 0 // Ai=-Ai
v_add_f64 v[90:91], -v[vgprValuA_X1_I0+4+0+0:vgprValuA_X1_I0+4+0+0+1], 0 // Ar=-Ar
v_mfma_f64_16x16x4f64 a[8+0:15+0], v[vgprValuB_X1_I0+0+0+0:vgprValuB_X1_I0+0+0+0+1], v[vgprValuA_X1_I0+4+0+0:vgprValuA_X1_I0+4+0+0+1], a[8:15]
 // Cr += Ar*Br
/*  mfmaIndex:33  */
/* localReadsVacancy: latencyLeft 5 */
v_mfma_f64_16x16x4f64 a[56+0:63+0], v[vgprValuB_X1_I0+0+0+0:vgprValuB_X1_I0+0+0+0+1], v[88:89], a[56:63]
 // Ci += -Ai*Br
/*  mfmaIndex:34  */
/* localReadsVacancy: latencyLeft 5 */
v_mfma_f64_16x16x4f64 a[8+0:15+0], v[vgprValuB_X1_I0+0+0+0+2:vgprValuB_X1_I0+0+0+0+2+1], v[88:89], a[8:15]
 // Cr += -Ai*Bi
/*  mfmaIndex:35  */
/* localReadsVacancy: latencyLeft 5 */
v_mfma_f64_16x16x4f64 a[56+0:63+0], v[vgprValuB_X1_I0+0+0+0+2:vgprValuB_X1_I0+0+0+0+2+1], v[90:91], a[56:63]
 // Ci += -Ar*Bi
/*  mfmaIndex:36  */
/* localReadsVacancy: latencyLeft 5 */
v_mfma_f64_16x16x4f64 a[32+0:39+0], v[vgprValuB_X1_I0+4+0+0:vgprValuB_X1_I0+4+0+0+1], v[vgprValuA_X1_I0+4+0+0:vgprValuA_X1_I0+4+0+0+1], a[32:39]
 // Cr += Ar*Br
/*  mfmaIndex:37  */
/* localReadsVacancy: latencyLeft 5 */
v_mfma_f64_16x16x4f64 a[80+0:87+0], v[vgprValuB_X1_I0+4+0+0:vgprValuB_X1_I0+4+0+0+1], v[88:89], a[80:87]
 // Ci += -Ai*Br
/*  mfmaIndex:38  */
/* localReadsVacancy: latencyLeft 5 */
v_mfma_f64_16x16x4f64 a[32+0:39+0], v[vgprValuB_X1_I0+4+0+0+2:vgprValuB_X1_I0+4+0+0+2+1], v[88:89], a[32:39]
 // Cr += -Ai*Bi
/*  mfmaIndex:39  */
/* localReadsVacancy: latencyLeft 5 */
v_mfma_f64_16x16x4f64 a[80+0:87+0], v[vgprValuB_X1_I0+4+0+0+2:vgprValuB_X1_I0+4+0+0+2+1], v[90:91], a[80:87]
 // Ci += -Ar*Bi
/*  mfmaIndex:40  */
/* localReadsVacancy: latencyLeft 5 */
v_add_f64 v[88:89], -v[vgprValuA_X1_I0+8+0+0+2:vgprValuA_X1_I0+8+0+0+2+1], 0 // Ai=-Ai
v_add_f64 v[90:91], -v[vgprValuA_X1_I0+8+0+0:vgprValuA_X1_I0+8+0+0+1], 0 // Ar=-Ar
v_mfma_f64_16x16x4f64 a[16+0:23+0], v[vgprValuB_X1_I0+0+0+0:vgprValuB_X1_I0+0+0+0+1], v[vgprValuA_X1_I0+8+0+0:vgprValuA_X1_I0+8+0+0+1], a[16:23]
 // Cr += Ar*Br
/*  mfmaIndex:41  */
/* localReadsVacancy: latencyLeft 5 */
v_mfma_f64_16x16x4f64 a[64+0:71+0], v[vgprValuB_X1_I0+0+0+0:vgprValuB_X1_I0+0+0+0+1], v[88:89], a[64:71]
 // Ci += -Ai*Br
/*  mfmaIndex:42  */
/* localReadsVacancy: latencyLeft 5 */
v_mfma_f64_16x16x4f64 a[16+0:23+0], v[vgprValuB_X1_I0+0+0+0+2:vgprValuB_X1_I0+0+0+0+2+1], v[88:89], a[16:23]
 // Cr += -Ai*Bi
/*  mfmaIndex:43  */
/* localReadsVacancy: latencyLeft 5 */
v_mfma_f64_16x16x4f64 a[64+0:71+0], v[vgprValuB_X1_I0+0+0+0+2:vgprValuB_X1_I0+0+0+0+2+1], v[90:91], a[64:71]
 // Ci += -Ar*Bi
/*  mfmaIndex:44  */
/* localReadsVacancy: latencyLeft 5 */
v_mfma_f64_16x16x4f64 a[40+0:47+0], v[vgprValuB_X1_I0+4+0+0:vgprValuB_X1_I0+4+0+0+1], v[vgprValuA_X1_I0+8+0+0:vgprValuA_X1_I0+8+0+0+1], a[40:47]
 // Cr += Ar*Br
/*  mfmaIndex:45  */
/* localReadsVacancy: latencyLeft 5 */
v_mfma_f64_16x16x4f64 a[88+0:95+0], v[vgprValuB_X1_I0+4+0+0:vgprValuB_X1_I0+4+0+0+1], v[88:89], a[88:95]
 // Ci += -Ai*Br
/*  mfmaIndex:46  */
/* localReadsVacancy: latencyLeft 5 */
v_mfma_f64_16x16x4f64 a[40+0:47+0], v[vgprValuB_X1_I0+4+0+0+2:vgprValuB_X1_I0+4+0+0+2+1], v[88:89], a[40:47]
 // Cr += -Ai*Bi
/*  mfmaIndex:47  */
/* localReadsVacancy: latencyLeft 5 */
v_mfma_f64_16x16x4f64 a[88+0:95+0], v[vgprValuB_X1_I0+4+0+0+2:vgprValuB_X1_I0+4+0+0+2+1], v[90:91], a[88:95]
 // Ci += -Ar*Bi
/* numPrefetchIter=0 */
/* dataAtIterA=0 numReadsIterA=2 skipReadsIterA=1 readsPerIterA=3 */
/* dataAtIterB=0 numReadsIterB=2 skipReadsIterB=1 readsPerIterB=2 */


/* closeLoop loopL finalLoop=0 tailLoop=1 */
s_sub_i32 s[sgprLoopCounterL], s[sgprLoopCounterL], 0x4 // dec counterL (tailLoop)
s_add_u32 s[sgprOrigLoopCounter], s[sgprOrigLoopCounter], 0x4 // inc counterL
s_cmp_le_i32 s[sgprLoopCounterL], 0x0              // counterL<=0
s_cbranch_scc1 TailLoopEndL_7                      // exit LoopL


/* iter 2 (last unrolled loop) */

/*  grEndMfmaIndex:0, lwStartMfmaIndex:84, lwEndMfmaIndex:84  */
/*  numMfmaForLR:9, barrierMfmaIndex:86, LocalWritePerMfma:0.375 */
/*  mfmaIndex:48  */
_ds_load_b128 v[vgprValuA_X1_I0+0:vgprValuA_X1_I0+0+3], v[vgprLocalReadAddrA] offset:192 // L -> Reg lro=12 swapByteOffset=0 ti=32 vIdx=0 rIdx=0 oIdx=0 buffer=1 iui=0
s_waitcnt lgkmcnt(1)                               // lgkmcnt=0 vmcnt=-1wait for prior local read local write old=0, new=1 newLW=0 newLR=1

/* tail loop mfma iter 2: numReadsIterCoalescedA=1, numReadsIterCoalescedB=1 */
v_and_b32 v87, 63, v[vgprSerial]                   // v87 = v[vgprSerial] % 64
v_lshrrev_b32 v87, 4, v87                          // v87 = v87 / 16
                                                   // v87 = v87 * 1 (multiplier is 1, do nothing)
v_cmp_ge_i32 s[68:69], v87, s[sgprLoopCounterL]    // check K index >= Size L
v_cndmask_b32 v[vgprValuA_X0_I0+0+0+0+0], v[vgprValuA_X0_I0+0+0+0+0], 0x0, s[68:69] // set 0 if K_idx >= sizeL
v_cndmask_b32 v[vgprValuA_X0_I0+4+0+0+0], v[vgprValuA_X0_I0+4+0+0+0], 0x0, s[68:69] // set 0 if K_idx >= sizeL
	;; [unrolled: 1-line block ×12, first 2 shown]
s_nop 1
v_add_f64 v[88:89], -v[vgprValuA_X0_I0+0+0+0+2:vgprValuA_X0_I0+0+0+0+2+1], 0 // Ai=-Ai
v_add_f64 v[90:91], -v[vgprValuA_X0_I0+0+0+0:vgprValuA_X0_I0+0+0+0+1], 0 // Ar=-Ar
v_mfma_f64_16x16x4f64 a[0+0:7+0], v[vgprValuB_X0_I0+0+0+0:vgprValuB_X0_I0+0+0+0+1], v[vgprValuA_X0_I0+0+0+0:vgprValuA_X0_I0+0+0+0+1], a[0:7]
 // Cr += Ar*Br
/*  mfmaIndex:49  */
_ds_load_b128 v[vgprValuB_X1_I0+0:vgprValuB_X1_I0+0+3], v[vgprLocalReadAddrB] offset:12288 // L -> Reg lro=768 swapByteOffset=0 ti=32 vIdx=0 rIdx=0 oIdx=0 buffer=1 iui=0
v_mfma_f64_16x16x4f64 a[48+0:55+0], v[vgprValuB_X0_I0+0+0+0:vgprValuB_X0_I0+0+0+0+1], v[88:89], a[48:55]
 // Ci += -Ai*Br
/*  mfmaIndex:50  */
_ds_load_b128 v[vgprValuA_X1_I0+4:vgprValuA_X1_I0+4+3], v[vgprLocalReadAddrA] offset:10432 // L -> Reg lro=12 swapByteOffset=0 ti=32 vIdx=1 rIdx=0 oIdx=0 buffer=1 iui=0
v_mfma_f64_16x16x4f64 a[0+0:7+0], v[vgprValuB_X0_I0+0+0+0+2:vgprValuB_X0_I0+0+0+0+2+1], v[88:89], a[0:7]
 // Cr += -Ai*Bi
/*  mfmaIndex:51  */
_ds_load_b128 v[vgprValuA_X1_I0+8:vgprValuA_X1_I0+8+3], v[vgprLocalReadAddrA] offset:20672 // L -> Reg lro=12 swapByteOffset=0 ti=32 vIdx=2 rIdx=0 oIdx=0 buffer=1 iui=0
v_mfma_f64_16x16x4f64 a[48+0:55+0], v[vgprValuB_X0_I0+0+0+0+2:vgprValuB_X0_I0+0+0+0+2+1], v[90:91], a[48:55]
 // Ci += -Ar*Bi
/*  mfmaIndex:52  */
_ds_load_b128 v[vgprValuB_X1_I0+4:vgprValuB_X1_I0+4+3], v[vgprLocalReadAddrB] offset:12800 // L -> Reg lro=768 swapByteOffset=0 ti=32 vIdx=1 rIdx=0 oIdx=0 buffer=1 iui=0
/* localReadsVacancy: latencyLeft 1 */
v_mfma_f64_16x16x4f64 a[24+0:31+0], v[vgprValuB_X0_I0+4+0+0:vgprValuB_X0_I0+4+0+0+1], v[vgprValuA_X0_I0+0+0+0:vgprValuA_X0_I0+0+0+0+1], a[24:31]
 // Cr += Ar*Br
/*  mfmaIndex:53  */
/* localReadsVacancy: latencyLeft 5 */
v_mfma_f64_16x16x4f64 a[72+0:79+0], v[vgprValuB_X0_I0+4+0+0:vgprValuB_X0_I0+4+0+0+1], v[88:89], a[72:79]
 // Ci += -Ai*Br
/*  mfmaIndex:54  */
/* localReadsVacancy: latencyLeft 5 */
v_mfma_f64_16x16x4f64 a[24+0:31+0], v[vgprValuB_X0_I0+4+0+0+2:vgprValuB_X0_I0+4+0+0+2+1], v[88:89], a[24:31]
 // Cr += -Ai*Bi
/*  mfmaIndex:55  */
/* localReadsVacancy: latencyLeft 5 */
v_mfma_f64_16x16x4f64 a[72+0:79+0], v[vgprValuB_X0_I0+4+0+0+2:vgprValuB_X0_I0+4+0+0+2+1], v[90:91], a[72:79]
 // Ci += -Ar*Bi
/*  mfmaIndex:56  */
/* localReadsVacancy: latencyLeft 5 */
v_add_f64 v[88:89], -v[vgprValuA_X0_I0+4+0+0+2:vgprValuA_X0_I0+4+0+0+2+1], 0 // Ai=-Ai
v_add_f64 v[90:91], -v[vgprValuA_X0_I0+4+0+0:vgprValuA_X0_I0+4+0+0+1], 0 // Ar=-Ar
v_mfma_f64_16x16x4f64 a[8+0:15+0], v[vgprValuB_X0_I0+0+0+0:vgprValuB_X0_I0+0+0+0+1], v[vgprValuA_X0_I0+4+0+0:vgprValuA_X0_I0+4+0+0+1], a[8:15]
 // Cr += Ar*Br
/*  mfmaIndex:57  */
/* localReadsVacancy: latencyLeft 5 */
v_mfma_f64_16x16x4f64 a[56+0:63+0], v[vgprValuB_X0_I0+0+0+0:vgprValuB_X0_I0+0+0+0+1], v[88:89], a[56:63]
 // Ci += -Ai*Br
/*  mfmaIndex:58  */
/* localReadsVacancy: latencyLeft 5 */
v_mfma_f64_16x16x4f64 a[8+0:15+0], v[vgprValuB_X0_I0+0+0+0+2:vgprValuB_X0_I0+0+0+0+2+1], v[88:89], a[8:15]
 // Cr += -Ai*Bi
/*  mfmaIndex:59  */
/* localReadsVacancy: latencyLeft 5 */
v_mfma_f64_16x16x4f64 a[56+0:63+0], v[vgprValuB_X0_I0+0+0+0+2:vgprValuB_X0_I0+0+0+0+2+1], v[90:91], a[56:63]
 // Ci += -Ar*Bi
/*  mfmaIndex:60  */
/* localReadsVacancy: latencyLeft 5 */
v_mfma_f64_16x16x4f64 a[32+0:39+0], v[vgprValuB_X0_I0+4+0+0:vgprValuB_X0_I0+4+0+0+1], v[vgprValuA_X0_I0+4+0+0:vgprValuA_X0_I0+4+0+0+1], a[32:39]
 // Cr += Ar*Br
/*  mfmaIndex:61  */
/* localReadsVacancy: latencyLeft 5 */
v_mfma_f64_16x16x4f64 a[80+0:87+0], v[vgprValuB_X0_I0+4+0+0:vgprValuB_X0_I0+4+0+0+1], v[88:89], a[80:87]
 // Ci += -Ai*Br
/*  mfmaIndex:62  */
/* localReadsVacancy: latencyLeft 5 */
v_mfma_f64_16x16x4f64 a[32+0:39+0], v[vgprValuB_X0_I0+4+0+0+2:vgprValuB_X0_I0+4+0+0+2+1], v[88:89], a[32:39]
 // Cr += -Ai*Bi
/*  mfmaIndex:63  */
/* localReadsVacancy: latencyLeft 5 */
v_mfma_f64_16x16x4f64 a[80+0:87+0], v[vgprValuB_X0_I0+4+0+0+2:vgprValuB_X0_I0+4+0+0+2+1], v[90:91], a[80:87]
 // Ci += -Ar*Bi
/*  mfmaIndex:64  */
/* localReadsVacancy: latencyLeft 5 */
v_add_f64 v[88:89], -v[vgprValuA_X0_I0+8+0+0+2:vgprValuA_X0_I0+8+0+0+2+1], 0 // Ai=-Ai
v_add_f64 v[90:91], -v[vgprValuA_X0_I0+8+0+0:vgprValuA_X0_I0+8+0+0+1], 0 // Ar=-Ar
v_mfma_f64_16x16x4f64 a[16+0:23+0], v[vgprValuB_X0_I0+0+0+0:vgprValuB_X0_I0+0+0+0+1], v[vgprValuA_X0_I0+8+0+0:vgprValuA_X0_I0+8+0+0+1], a[16:23]
 // Cr += Ar*Br
/*  mfmaIndex:65  */
/* localReadsVacancy: latencyLeft 5 */
v_mfma_f64_16x16x4f64 a[64+0:71+0], v[vgprValuB_X0_I0+0+0+0:vgprValuB_X0_I0+0+0+0+1], v[88:89], a[64:71]
 // Ci += -Ai*Br
/*  mfmaIndex:66  */
/* localReadsVacancy: latencyLeft 5 */
v_mfma_f64_16x16x4f64 a[16+0:23+0], v[vgprValuB_X0_I0+0+0+0+2:vgprValuB_X0_I0+0+0+0+2+1], v[88:89], a[16:23]
 // Cr += -Ai*Bi
/*  mfmaIndex:67  */
/* localReadsVacancy: latencyLeft 5 */
v_mfma_f64_16x16x4f64 a[64+0:71+0], v[vgprValuB_X0_I0+0+0+0+2:vgprValuB_X0_I0+0+0+0+2+1], v[90:91], a[64:71]
 // Ci += -Ar*Bi
/*  mfmaIndex:68  */
/* localReadsVacancy: latencyLeft 5 */
v_mfma_f64_16x16x4f64 a[40+0:47+0], v[vgprValuB_X0_I0+4+0+0:vgprValuB_X0_I0+4+0+0+1], v[vgprValuA_X0_I0+8+0+0:vgprValuA_X0_I0+8+0+0+1], a[40:47]
 // Cr += Ar*Br
/*  mfmaIndex:69  */
/* localReadsVacancy: latencyLeft 5 */
v_mfma_f64_16x16x4f64 a[88+0:95+0], v[vgprValuB_X0_I0+4+0+0:vgprValuB_X0_I0+4+0+0+1], v[88:89], a[88:95]
 // Ci += -Ai*Br
/*  mfmaIndex:70  */
/* localReadsVacancy: latencyLeft 5 */
v_mfma_f64_16x16x4f64 a[40+0:47+0], v[vgprValuB_X0_I0+4+0+0+2:vgprValuB_X0_I0+4+0+0+2+1], v[88:89], a[40:47]
 // Cr += -Ai*Bi
/*  mfmaIndex:71  */
/* localReadsVacancy: latencyLeft 5 */
v_mfma_f64_16x16x4f64 a[88+0:95+0], v[vgprValuB_X0_I0+4+0+0+2:vgprValuB_X0_I0+4+0+0+2+1], v[90:91], a[88:95]
 // Ci += -Ar*Bi
/* numPrefetchIter=0 */
/* dataAtIterA=1 numReadsIterA=3 skipReadsIterA=1 readsPerIterA=3 */
/* dataAtIterB=1 numReadsIterB=3 skipReadsIterB=1 readsPerIterB=2 */


/* closeLoop loopL finalLoop=0 tailLoop=1 */
s_sub_i32 s[sgprLoopCounterL], s[sgprLoopCounterL], 0x4 // dec counterL (tailLoop)
s_add_u32 s[sgprOrigLoopCounter], s[sgprOrigLoopCounter], 0x4 // inc counterL
s_cmp_le_i32 s[sgprLoopCounterL], 0x0              // counterL<=0
s_cbranch_scc1 TailLoopEndL_7                      // exit LoopL


/* iter 3 (last unrolled loop) */

/*  grEndMfmaIndex:0, lwStartMfmaIndex:84, lwEndMfmaIndex:84  */
/*  numMfmaForLR:9, barrierMfmaIndex:86, LocalWritePerMfma:0.375 */
/*  mfmaIndex:72  */
s_waitcnt lgkmcnt(0)                               // lgkmcnt=0 vmcnt=-1wait for prior local read local write old=0, new=0 newLW=0 newLR=0

/* tail loop mfma iter 3: numReadsIterCoalescedA=1, numReadsIterCoalescedB=1 */
v_and_b32 v87, 63, v[vgprSerial]                   // v87 = v[vgprSerial] % 64
v_lshrrev_b32 v87, 4, v87                          // v87 = v87 / 16
                                                   // v87 = v87 * 1 (multiplier is 1, do nothing)
v_cmp_ge_i32 s[68:69], v87, s[sgprLoopCounterL]    // check K index >= Size L
v_cndmask_b32 v[vgprValuA_X1_I0+0+0+0+0], v[vgprValuA_X1_I0+0+0+0+0], 0x0, s[68:69] // set 0 if K_idx >= sizeL
v_cndmask_b32 v[vgprValuA_X1_I0+4+0+0+0], v[vgprValuA_X1_I0+4+0+0+0], 0x0, s[68:69] // set 0 if K_idx >= sizeL
	;; [unrolled: 1-line block ×12, first 2 shown]
s_nop 1
v_add_f64 v[88:89], -v[vgprValuA_X1_I0+0+0+0+2:vgprValuA_X1_I0+0+0+0+2+1], 0 // Ai=-Ai
v_add_f64 v[90:91], -v[vgprValuA_X1_I0+0+0+0:vgprValuA_X1_I0+0+0+0+1], 0 // Ar=-Ar
v_mfma_f64_16x16x4f64 a[0+0:7+0], v[vgprValuB_X1_I0+0+0+0:vgprValuB_X1_I0+0+0+0+1], v[vgprValuA_X1_I0+0+0+0:vgprValuA_X1_I0+0+0+0+1], a[0:7]
 // Cr += Ar*Br
/*  mfmaIndex:73  */
v_mfma_f64_16x16x4f64 a[48+0:55+0], v[vgprValuB_X1_I0+0+0+0:vgprValuB_X1_I0+0+0+0+1], v[88:89], a[48:55]
 // Ci += -Ai*Br
/*  mfmaIndex:74  */
v_mfma_f64_16x16x4f64 a[0+0:7+0], v[vgprValuB_X1_I0+0+0+0+2:vgprValuB_X1_I0+0+0+0+2+1], v[88:89], a[0:7]
 // Cr += -Ai*Bi
/*  mfmaIndex:75  */
v_mfma_f64_16x16x4f64 a[48+0:55+0], v[vgprValuB_X1_I0+0+0+0+2:vgprValuB_X1_I0+0+0+0+2+1], v[90:91], a[48:55]
 // Ci += -Ar*Bi
/*  mfmaIndex:76  */
v_mfma_f64_16x16x4f64 a[24+0:31+0], v[vgprValuB_X1_I0+4+0+0:vgprValuB_X1_I0+4+0+0+1], v[vgprValuA_X1_I0+0+0+0:vgprValuA_X1_I0+0+0+0+1], a[24:31]
 // Cr += Ar*Br
/*  mfmaIndex:77  */
v_mfma_f64_16x16x4f64 a[72+0:79+0], v[vgprValuB_X1_I0+4+0+0:vgprValuB_X1_I0+4+0+0+1], v[88:89], a[72:79]
 // Ci += -Ai*Br
/*  mfmaIndex:78  */
v_mfma_f64_16x16x4f64 a[24+0:31+0], v[vgprValuB_X1_I0+4+0+0+2:vgprValuB_X1_I0+4+0+0+2+1], v[88:89], a[24:31]
 // Cr += -Ai*Bi
/*  mfmaIndex:79  */
v_mfma_f64_16x16x4f64 a[72+0:79+0], v[vgprValuB_X1_I0+4+0+0+2:vgprValuB_X1_I0+4+0+0+2+1], v[90:91], a[72:79]
 // Ci += -Ar*Bi
/*  mfmaIndex:80  */
v_add_f64 v[88:89], -v[vgprValuA_X1_I0+4+0+0+2:vgprValuA_X1_I0+4+0+0+2+1], 0 // Ai=-Ai
v_add_f64 v[90:91], -v[vgprValuA_X1_I0+4+0+0:vgprValuA_X1_I0+4+0+0+1], 0 // Ar=-Ar
v_mfma_f64_16x16x4f64 a[8+0:15+0], v[vgprValuB_X1_I0+0+0+0:vgprValuB_X1_I0+0+0+0+1], v[vgprValuA_X1_I0+4+0+0:vgprValuA_X1_I0+4+0+0+1], a[8:15]
 // Cr += Ar*Br
/*  mfmaIndex:81  */
v_mfma_f64_16x16x4f64 a[56+0:63+0], v[vgprValuB_X1_I0+0+0+0:vgprValuB_X1_I0+0+0+0+1], v[88:89], a[56:63]
 // Ci += -Ai*Br
/*  mfmaIndex:82  */
v_mfma_f64_16x16x4f64 a[8+0:15+0], v[vgprValuB_X1_I0+0+0+0+2:vgprValuB_X1_I0+0+0+0+2+1], v[88:89], a[8:15]
 // Cr += -Ai*Bi
/*  mfmaIndex:83  */
/* 1 LDS buffer: read-sync-write */
s_waitcnt lgkmcnt(0)                               // 
s_barrier                                          // 
v_mfma_f64_16x16x4f64 a[56+0:63+0], v[vgprValuB_X1_I0+0+0+0+2:vgprValuB_X1_I0+0+0+0+2+1], v[90:91], a[56:63]
 // Ci += -Ar*Bi
/*  mfmaIndex:84  */
s_setprio 3                                        // store optimization
v_mfma_f64_16x16x4f64 a[32+0:39+0], v[vgprValuB_X1_I0+4+0+0:vgprValuB_X1_I0+4+0+0+1], v[vgprValuA_X1_I0+4+0+0:vgprValuA_X1_I0+4+0+0+1], a[32:39]
 // Cr += Ar*Br
/*  mfmaIndex:85  */
v_mfma_f64_16x16x4f64 a[80+0:87+0], v[vgprValuB_X1_I0+4+0+0:vgprValuB_X1_I0+4+0+0+1], v[88:89], a[80:87]
 // Ci += -Ai*Br
s_setprio 0                                        // store optimization
/*  mfmaIndex:86  */
v_mfma_f64_16x16x4f64 a[32+0:39+0], v[vgprValuB_X1_I0+4+0+0+2:vgprValuB_X1_I0+4+0+0+2+1], v[88:89], a[32:39]
 // Cr += -Ai*Bi
/*  mfmaIndex:87  */
s_setprio 3                                        // store optimization
v_mfma_f64_16x16x4f64 a[80+0:87+0], v[vgprValuB_X1_I0+4+0+0+2:vgprValuB_X1_I0+4+0+0+2+1], v[90:91], a[80:87]
 // Ci += -Ar*Bi
/*  mfmaIndex:88  */
v_add_f64 v[88:89], -v[vgprValuA_X1_I0+8+0+0+2:vgprValuA_X1_I0+8+0+0+2+1], 0 // Ai=-Ai
v_add_f64 v[90:91], -v[vgprValuA_X1_I0+8+0+0:vgprValuA_X1_I0+8+0+0+1], 0 // Ar=-Ar
v_mfma_f64_16x16x4f64 a[16+0:23+0], v[vgprValuB_X1_I0+0+0+0:vgprValuB_X1_I0+0+0+0+1], v[vgprValuA_X1_I0+8+0+0:vgprValuA_X1_I0+8+0+0+1], a[16:23]
 // Cr += Ar*Br
/*  mfmaIndex:89  */
v_mfma_f64_16x16x4f64 a[64+0:71+0], v[vgprValuB_X1_I0+0+0+0:vgprValuB_X1_I0+0+0+0+1], v[88:89], a[64:71]
 // Ci += -Ai*Br
/*  mfmaIndex:90  */
v_mfma_f64_16x16x4f64 a[16+0:23+0], v[vgprValuB_X1_I0+0+0+0+2:vgprValuB_X1_I0+0+0+0+2+1], v[88:89], a[16:23]
 // Cr += -Ai*Bi
/*  mfmaIndex:91  */
v_mfma_f64_16x16x4f64 a[64+0:71+0], v[vgprValuB_X1_I0+0+0+0+2:vgprValuB_X1_I0+0+0+0+2+1], v[90:91], a[64:71]
 // Ci += -Ar*Bi
/*  mfmaIndex:92  */
v_mfma_f64_16x16x4f64 a[40+0:47+0], v[vgprValuB_X1_I0+4+0+0:vgprValuB_X1_I0+4+0+0+1], v[vgprValuA_X1_I0+8+0+0:vgprValuA_X1_I0+8+0+0+1], a[40:47]
 // Cr += Ar*Br
/*  mfmaIndex:93  */
v_mfma_f64_16x16x4f64 a[88+0:95+0], v[vgprValuB_X1_I0+4+0+0:vgprValuB_X1_I0+4+0+0+1], v[88:89], a[88:95]
 // Ci += -Ai*Br
/*  mfmaIndex:94  */
v_mfma_f64_16x16x4f64 a[40+0:47+0], v[vgprValuB_X1_I0+4+0+0+2:vgprValuB_X1_I0+4+0+0+2+1], v[88:89], a[40:47]
 // Cr += -Ai*Bi
/*  mfmaIndex:95  */
v_mfma_f64_16x16x4f64 a[88+0:95+0], v[vgprValuB_X1_I0+4+0+0+2:vgprValuB_X1_I0+4+0+0+2+1], v[90:91], a[88:95]
 // Ci += -Ar*Bi
/* numPrefetchIter=0 */
/* dataAtIterA=2 numReadsIterA=3 skipReadsIterA=0 readsPerIterA=3 */
/* dataAtIterB=2 numReadsIterB=3 skipReadsIterB=0 readsPerIterB=2 */

TailLoopEndL_7:

s_waitcnt lgkmcnt(0)                               // lgkmcnt=0 vmcnt=-113wait for remaining local read for tail loop in NLL

PrefetchGlobalLastIterEnd_5:

Summation_End_34:
s_setprio 0                                        // optimization store
/* endSummation: add vgpr [0...84) to pool */
.set NumFullBlocks, UNDEF
.set WgmRemainder1, UNDEF
.set MagicNumberWgmRemainder1, UNDEF
.set ScalarGlobalReadOffsetB, UNDEF

/* Mapping of Acc register -> C Vgpr register */


	;; [unrolled: 1-line block ×3, first 2 shown]
/* not-LocalSplitU: global write indices */

/* computeStoreVgprs */
v_lshrrev_b32 v4, 6, v[vgprSerial]                 // v4 = v[vgprSerial] / 64
v_and_b32 v1, 63, v[vgprSerial]                    // v1 = v[vgprSerial] % 64
v_lshrrev_b32 v1, 4, v1                            // v1 = v1 / 16
                                                   // thread0 * continuous_output (multiplier is 1, do nothing)
v_lshrrev_b32 v5, 1, v4                            // v5 = v4 / 2
v_mul_lo_u32 v5, 0x10, v5                          // wave coordination offset 1
_v_add_lshl_u32 v1, v5, v1, 0                      // coordination 1 = vwb *(wave_id1 + tid1)
v_mul_lo_u32 v2, v1, s[sgprStrideC1J]              //  offset 1
v_mul_lo_u32 v3, v1, s[sgprStrideD1J]              //  offset 1
v_and_b32 v5, 1, v4                                // v5 = v4 % 2
v_mul_lo_u32 v5, 0x10, v5                          // wave coordination offset 0
v_and_b32 v0, 15, v[vgprSerial]                    // v0 = v[vgprSerial] % 16
_v_add_lshl_u32 v0, v5, v0, 0                      // coordination 0 = vwa *(wave_id0 + tid0)
s_mul_i32 s58, 96, s[sgprWorkGroup0]               // wgp0 * MT0
_v_add_u32 v0, s58, v0                             // coord 0 = (tid0/MI_m)*4 + waveG0*MIB_m + MT0*SG0
s_mul_i32 s58, 64, s[sgprWorkGroup1]               // wgp1 * MT1
_v_add_u32 v1, s58, v1                             // coord 1 = (tid0%MI_m) + waveG1*MIB_n + MT1*SG1


/* not-LocalSplitU: global write */

s_mov_b32 s58, s[sgprBeta+0]                       // tmp = Beta[0]
s_or_b32 s58, s[sgprBeta+1], s58                   // tmp |= Beta[1] 
s_or_b32 s58, s[sgprBeta+2], s58                   // tmp |= Beta[2] 
	;; [unrolled: 1-line block ×3, first 2 shown]
s_cmpk_eq_u32 s58, 0x0                             // Beta == 0
s_cbranch_scc0 GW_Beta_49                          // Branch if Beta is not zero

s_mov_b32 s61, 0x0                                 // STATIC_DIV: divisior=96
s_mul_i32 s60, 0x555, s[sgprSizeI]                 // tmp1 = dividend * magic hi
s_lshl_b64 s[60:61], s[60:61], 0x10                // left shift 16 bits
s_mul_i32 s59, s[sgprSizeI], 0x5556                // tmp0 = dividend * magic lo
s_add_u32 s60, s59, s60                            // add lo
s_addc_u32 s61, s61, 0x0                           // add hi
s_lshr_b64 s[60:61], s[60:61], 0x21                // tmp1 = (dividend * magic) << shift
s_mov_b32 s59, s60                                 // quotient
s_mul_i32 s60, s59, 0x60                           // quotient*divisor
s_sub_u32 s58, s[sgprSizeI], s60                   // rReg = dividend - quotient*divisor
s_add_u32 s59, -0x1, s[sgprNumWorkGroups0]         // 
s_cmp_ge_u32 s[sgprWorkGroup0], s59                // wg0 >= nwg0-1 ?
s_cselect_b32 s58, s58, 0                          // set rMT0
s_cmpk_gt_u32 s58, 0x0                             // rMT0 > 0
s_cbranch_scc1 GW_B0_E1_40                         // jump if edges required
s_and_b32 s58, 63, s[sgprSizeJ]                    // s58 = s[sgprSizeJ] % 64
s_add_u32 s59, -0x1, s[sgprNumWorkGroups1]         // 
s_cmp_ge_u32 s[sgprWorkGroup1], s59                // wg1 >= nwg1-1
s_cselect_b32 s58, s58, 0                          // set rMT1
s_cmpk_gt_u32 s58, 0x0                             // rMT1 > 0
s_cbranch_scc1 GW_B0_E1_40                         // jump if edges required
GW_B0_E0_37:

/* edge=0, allocate 2 sgpr. perBatchTmpS=2 perBatchMaskS=0 perElementMaskS=0 elementsPerBatch=61 */
/* optSingleColVgpr=1 optSharedColVgpr=0 optSGPRUsage=BufferLoad_Mask optSrdIncForRow=1 */
s_sleep 3 // optimization: sync and wait
s_barrier

/******************************************/
/* Global Write Alpha Batch #0 (d1,d0,vc1,vc0) = */
/*    (0,0,0,0:vw1); (0,1,0,0:vw1); (0,2,0,0:vw1); (1,0,0,0:vw1); (1,1,0,0:vw1); (1,2,0,0:vw1); (2,0,0,0:vw1); (2,1,0,0:vw1); (2,2,0,0:vw1); (3,0,0,0:vw1); (3,1,0,0:vw1); (3,2,0,0:vw1); (4,0,0,0:vw1); (4,1,0,0:vw1); (4,2,0,0:vw1); (5,0,0,0:vw1); (5,1,0,0:vw1); (5,2,0,0:vw1); (6,0,0,0:vw1); (6,1,0,0:vw1); (6,2,0,0:vw1); (7,0,0,0:vw1); (7,1,0,0:vw1); (7,2,0,0:vw1) */
/******************************************/

/* calc coords, apply mask, and issue loads (if necessary) */
/* (d1,vc1,d0,vc0)=(0,0,0,0) */
/* (d1,vc1,d0,vc0)=(0,0,1,0) */
	;; [unrolled: 1-line block ×24, first 2 shown]
_v_add_lshl_u32 v6, v3, v0, 0x4                    // optSingleColVgpr scaleToBpe: sharedAddrVgpr <- cinRowPtr + coord0, scaled by BPE. BSHERE:coord0=0, coord0Vgpr=0
v_accvgpr_read_b32 v[vgprValuC+8], acc0 // copy acc to vreg[0]
v_accvgpr_read_b32 v[vgprValuC+9], acc1 // copy acc to vreg[1]
v_accvgpr_read_b32 v[vgprValuC+10], acc48 // copy acc to vreg[2]
v_accvgpr_read_b32 v[vgprValuC+11], acc49 // copy acc to vreg[3]
v_accvgpr_read_b32 v[vgprValuC+12], acc8 // copy acc to vreg[4]
v_accvgpr_read_b32 v[vgprValuC+13], acc9 // copy acc to vreg[5]
v_accvgpr_read_b32 v[vgprValuC+14], acc56 // copy acc to vreg[6]
v_accvgpr_read_b32 v[vgprValuC+15], acc57 // copy acc to vreg[7]
v_accvgpr_read_b32 v[vgprValuC+16], acc16 // copy acc to vreg[8]
v_accvgpr_read_b32 v[vgprValuC+17], acc17 // copy acc to vreg[9]
v_accvgpr_read_b32 v[vgprValuC+18], acc64 // copy acc to vreg[10]
v_accvgpr_read_b32 v[vgprValuC+19], acc65 // copy acc to vreg[11]
v_accvgpr_read_b32 v[vgprValuC+20], acc2 // copy acc to vreg[12]
v_accvgpr_read_b32 v[vgprValuC+21], acc3 // copy acc to vreg[13]
v_accvgpr_read_b32 v[vgprValuC+22], acc50 // copy acc to vreg[14]
v_accvgpr_read_b32 v[vgprValuC+23], acc51 // copy acc to vreg[15]
v_accvgpr_read_b32 v[vgprValuC+24], acc10 // copy acc to vreg[16]
v_accvgpr_read_b32 v[vgprValuC+25], acc11 // copy acc to vreg[17]
v_accvgpr_read_b32 v[vgprValuC+26], acc58 // copy acc to vreg[18]
v_accvgpr_read_b32 v[vgprValuC+27], acc59 // copy acc to vreg[19]
v_accvgpr_read_b32 v[vgprValuC+28], acc18 // copy acc to vreg[20]
v_accvgpr_read_b32 v[vgprValuC+29], acc19 // copy acc to vreg[21]
v_accvgpr_read_b32 v[vgprValuC+30], acc66 // copy acc to vreg[22]
v_accvgpr_read_b32 v[vgprValuC+31], acc67 // copy acc to vreg[23]
v_accvgpr_read_b32 v[vgprValuC+32], acc4 // copy acc to vreg[24]
v_accvgpr_read_b32 v[vgprValuC+33], acc5 // copy acc to vreg[25]
v_accvgpr_read_b32 v[vgprValuC+34], acc52 // copy acc to vreg[26]
v_accvgpr_read_b32 v[vgprValuC+35], acc53 // copy acc to vreg[27]
v_accvgpr_read_b32 v[vgprValuC+36], acc12 // copy acc to vreg[28]
v_accvgpr_read_b32 v[vgprValuC+37], acc13 // copy acc to vreg[29]
v_accvgpr_read_b32 v[vgprValuC+38], acc60 // copy acc to vreg[30]
v_accvgpr_read_b32 v[vgprValuC+39], acc61 // copy acc to vreg[31]
v_accvgpr_read_b32 v[vgprValuC+40], acc20 // copy acc to vreg[32]
v_accvgpr_read_b32 v[vgprValuC+41], acc21 // copy acc to vreg[33]
v_accvgpr_read_b32 v[vgprValuC+42], acc68 // copy acc to vreg[34]
v_accvgpr_read_b32 v[vgprValuC+43], acc69 // copy acc to vreg[35]
v_accvgpr_read_b32 v[vgprValuC+44], acc6 // copy acc to vreg[36]
v_accvgpr_read_b32 v[vgprValuC+45], acc7 // copy acc to vreg[37]
v_accvgpr_read_b32 v[vgprValuC+46], acc54 // copy acc to vreg[38]
v_accvgpr_read_b32 v[vgprValuC+47], acc55 // copy acc to vreg[39]
v_accvgpr_read_b32 v[vgprValuC+48], acc14 // copy acc to vreg[40]
v_accvgpr_read_b32 v[vgprValuC+49], acc15 // copy acc to vreg[41]
v_accvgpr_read_b32 v[vgprValuC+50], acc62 // copy acc to vreg[42]
v_accvgpr_read_b32 v[vgprValuC+51], acc63 // copy acc to vreg[43]
v_accvgpr_read_b32 v[vgprValuC+52], acc22 // copy acc to vreg[44]
v_accvgpr_read_b32 v[vgprValuC+53], acc23 // copy acc to vreg[45]
v_accvgpr_read_b32 v[vgprValuC+54], acc70 // copy acc to vreg[46]
v_accvgpr_read_b32 v[vgprValuC+55], acc71 // copy acc to vreg[47]
v_accvgpr_read_b32 v[vgprValuC+56], acc24 // copy acc to vreg[48]
v_accvgpr_read_b32 v[vgprValuC+57], acc25 // copy acc to vreg[49]
v_accvgpr_read_b32 v[vgprValuC+58], acc72 // copy acc to vreg[50]
v_accvgpr_read_b32 v[vgprValuC+59], acc73 // copy acc to vreg[51]
v_accvgpr_read_b32 v[vgprValuC+60], acc32 // copy acc to vreg[52]
v_accvgpr_read_b32 v[vgprValuC+61], acc33 // copy acc to vreg[53]
v_accvgpr_read_b32 v[vgprValuC+62], acc80 // copy acc to vreg[54]
v_accvgpr_read_b32 v[vgprValuC+63], acc81 // copy acc to vreg[55]
v_accvgpr_read_b32 v[vgprValuC+64], acc40 // copy acc to vreg[56]
v_accvgpr_read_b32 v[vgprValuC+65], acc41 // copy acc to vreg[57]
v_accvgpr_read_b32 v[vgprValuC+66], acc88 // copy acc to vreg[58]
v_accvgpr_read_b32 v[vgprValuC+67], acc89 // copy acc to vreg[59]
v_accvgpr_read_b32 v[vgprValuC+68], acc26 // copy acc to vreg[60]
v_accvgpr_read_b32 v[vgprValuC+69], acc27 // copy acc to vreg[61]
v_accvgpr_read_b32 v[vgprValuC+70], acc74 // copy acc to vreg[62]
v_accvgpr_read_b32 v[vgprValuC+71], acc75 // copy acc to vreg[63]
v_accvgpr_read_b32 v[vgprValuC+72], acc34 // copy acc to vreg[64]
v_accvgpr_read_b32 v[vgprValuC+73], acc35 // copy acc to vreg[65]
v_accvgpr_read_b32 v[vgprValuC+74], acc82 // copy acc to vreg[66]
v_accvgpr_read_b32 v[vgprValuC+75], acc83 // copy acc to vreg[67]
v_accvgpr_read_b32 v[vgprValuC+76], acc42 // copy acc to vreg[68]
v_accvgpr_read_b32 v[vgprValuC+77], acc43 // copy acc to vreg[69]
v_accvgpr_read_b32 v[vgprValuC+78], acc90 // copy acc to vreg[70]
v_accvgpr_read_b32 v[vgprValuC+79], acc91 // copy acc to vreg[71]
v_accvgpr_read_b32 v[vgprValuC+80], acc28 // copy acc to vreg[72]
v_accvgpr_read_b32 v[vgprValuC+81], acc29 // copy acc to vreg[73]
v_accvgpr_read_b32 v[vgprValuC+82], acc76 // copy acc to vreg[74]
v_accvgpr_read_b32 v[vgprValuC+83], acc77 // copy acc to vreg[75]
v_accvgpr_read_b32 v[vgprValuC+88], acc36 // copy acc to vreg[76]
v_accvgpr_read_b32 v[vgprValuC+89], acc37 // copy acc to vreg[77]
v_accvgpr_read_b32 v[vgprValuC+90], acc84 // copy acc to vreg[78]
v_accvgpr_read_b32 v[vgprValuC+91], acc85 // copy acc to vreg[79]
v_accvgpr_read_b32 v[vgprValuC+92], acc44 // copy acc to vreg[80]
v_accvgpr_read_b32 v[vgprValuC+93], acc45 // copy acc to vreg[81]
v_accvgpr_read_b32 v[vgprValuC+94], acc92 // copy acc to vreg[82]
v_accvgpr_read_b32 v[vgprValuC+95], acc93 // copy acc to vreg[83]
v_accvgpr_read_b32 v[vgprValuC+96], acc30 // copy acc to vreg[84]
v_accvgpr_read_b32 v[vgprValuC+97], acc31 // copy acc to vreg[85]
v_accvgpr_read_b32 v[vgprValuC+98], acc78 // copy acc to vreg[86]
v_accvgpr_read_b32 v[vgprValuC+99], acc79 // copy acc to vreg[87]
v_accvgpr_read_b32 v[vgprValuC+100], acc38 // copy acc to vreg[88]
v_accvgpr_read_b32 v[vgprValuC+101], acc39 // copy acc to vreg[89]
v_accvgpr_read_b32 v[vgprValuC+102], acc86 // copy acc to vreg[90]
v_accvgpr_read_b32 v[vgprValuC+103], acc87 // copy acc to vreg[91]
v_accvgpr_read_b32 v[vgprValuC+104], acc46 // copy acc to vreg[92]
v_accvgpr_read_b32 v[vgprValuC+105], acc47 // copy acc to vreg[93]
v_accvgpr_read_b32 v[vgprValuC+106], acc94 // copy acc to vreg[94]
v_accvgpr_read_b32 v[vgprValuC+107], acc95 // copy acc to vreg[95]
s_nop 1                                            // 2 wait states required before reading vgpr

/* rC *= alpha batchElements=[(0, 0, 0, 0), (0, 1, 0, 0), (0, 2, 0, 0), (1, 0, 0, 0), (1, 1, 0, 0), (1, 2, 0, 0), (2, 0, 0, 0), (2, 1, 0, 0), (2, 2, 0, 0), (3, 0, 0, 0), (3, 1, 0, 0), (3, 2, 0, 0), (4, 0, 0, 0), (4, 1, 0, 0), (4, 2, 0, 0), (5, 0, 0, 0), (5, 1, 0, 0), (5, 2, 0, 0), (6, 0, 0, 0), (6, 1, 0, 0), (6, 2, 0, 0), (7, 0, 0, 0), (7, 1, 0, 0), (7, 2, 0, 0)] */
v_mul_f64 v[108:109], s[sgprAlpha+0:sgprAlpha+0+1], v[vgprValuC+8:vgprValuC+8+1] // 
v_mul_f64 v[110:111], s[sgprAlpha+2:sgprAlpha+2+1], v[vgprValuC+8:vgprValuC+8+1] // 
v_fma_f64 v[vgprValuC+8:vgprValuC+8+1], s[sgprAlpha+2:sgprAlpha+2+1], -v[vgprValuC+10:vgprValuC+10+1], v[108:109]
v_fma_f64 v[vgprValuC+10:vgprValuC+10+1], s[sgprAlpha+0:sgprAlpha+0+1], v[vgprValuC+10:vgprValuC+10+1], v[110:111]
v_mul_f64 v[108:109], s[sgprAlpha+0:sgprAlpha+0+1], v[vgprValuC+12:vgprValuC+12+1] // 
v_mul_f64 v[110:111], s[sgprAlpha+2:sgprAlpha+2+1], v[vgprValuC+12:vgprValuC+12+1] // 
v_fma_f64 v[vgprValuC+12:vgprValuC+12+1], s[sgprAlpha+2:sgprAlpha+2+1], -v[vgprValuC+14:vgprValuC+14+1], v[108:109]
v_fma_f64 v[vgprValuC+14:vgprValuC+14+1], s[sgprAlpha+0:sgprAlpha+0+1], v[vgprValuC+14:vgprValuC+14+1], v[110:111]
	;; [unrolled: 4-line block ×24, first 2 shown]

/* apply mask, calc new C and issue writes */
_buffer_store_b128 v[8:11], v6, s[sgprSrdD:sgprSrdD+3], 0, offen, offset:0,  glc slc // store D
_buffer_store_b128 v[12:15], v6, s[sgprSrdD:sgprSrdD+3], 0, offen, offset:512,  glc slc // store D
_buffer_store_b128 v[16:19], v6, s[sgprSrdD:sgprSrdD+3], 0, offen, offset:1024,  glc slc // store D
s_mul_i32 s58, s[sgprStrideD1J], 64                // scale StrideD *= numRows(4) * bpe
s_add_u32  s[sgprSrdD+0], s[sgprSrdD+0], s58       // incToNextRow: gra SRD += inc(lower)
s_addc_u32  s[sgprSrdD+1], s[sgprSrdD+1], 0        // incToNextRow: gra SRD += inc(upper)
_buffer_store_b128 v[20:23], v6, s[sgprSrdD:sgprSrdD+3], 0, offen, offset:0,  glc slc // store D
_buffer_store_b128 v[24:27], v6, s[sgprSrdD:sgprSrdD+3], 0, offen, offset:512,  glc slc // store D
_buffer_store_b128 v[28:31], v6, s[sgprSrdD:sgprSrdD+3], 0, offen, offset:1024,  glc slc // store D
s_mul_i32 s58, s[sgprStrideD1J], 64                // scale StrideD *= numRows(4) * bpe
s_add_u32  s[sgprSrdD+0], s[sgprSrdD+0], s58       // incToNextRow: gra SRD += inc(lower)
s_addc_u32  s[sgprSrdD+1], s[sgprSrdD+1], 0        // incToNextRow: gra SRD += inc(upper)
_buffer_store_b128 v[32:35], v6, s[sgprSrdD:sgprSrdD+3], 0, offen, offset:0,  glc slc // store D
_buffer_store_b128 v[36:39], v6, s[sgprSrdD:sgprSrdD+3], 0, offen, offset:512,  glc slc // store D
_buffer_store_b128 v[40:43], v6, s[sgprSrdD:sgprSrdD+3], 0, offen, offset:1024,  glc slc // store D
s_mul_i32 s58, s[sgprStrideD1J], 64                // scale StrideD *= numRows(4) * bpe
s_add_u32  s[sgprSrdD+0], s[sgprSrdD+0], s58       // incToNextRow: gra SRD += inc(lower)
s_addc_u32  s[sgprSrdD+1], s[sgprSrdD+1], 0        // incToNextRow: gra SRD += inc(upper)
_buffer_store_b128 v[44:47], v6, s[sgprSrdD:sgprSrdD+3], 0, offen, offset:0,  glc slc // store D
_buffer_store_b128 v[48:51], v6, s[sgprSrdD:sgprSrdD+3], 0, offen, offset:512,  glc slc // store D
	;; [unrolled: 1-line block ×3, first 2 shown]
s_mul_i32 s58, s[sgprStrideD1J], 320               // scale StrideD *= numRows(20) * bpe
s_add_u32  s[sgprSrdD+0], s[sgprSrdD+0], s58       // incToNextRow: gra SRD += inc(lower)
s_addc_u32  s[sgprSrdD+1], s[sgprSrdD+1], 0        // incToNextRow: gra SRD += inc(upper)
_buffer_store_b128 v[56:59], v6, s[sgprSrdD:sgprSrdD+3], 0, offen, offset:0,  glc slc // store D
_buffer_store_b128 v[60:63], v6, s[sgprSrdD:sgprSrdD+3], 0, offen, offset:512,  glc slc // store D
_buffer_store_b128 v[64:67], v6, s[sgprSrdD:sgprSrdD+3], 0, offen, offset:1024,  glc slc // store D
s_mul_i32 s58, s[sgprStrideD1J], 64                // scale StrideD *= numRows(4) * bpe
s_add_u32  s[sgprSrdD+0], s[sgprSrdD+0], s58       // incToNextRow: gra SRD += inc(lower)
s_addc_u32  s[sgprSrdD+1], s[sgprSrdD+1], 0        // incToNextRow: gra SRD += inc(upper)
_buffer_store_b128 v[68:71], v6, s[sgprSrdD:sgprSrdD+3], 0, offen, offset:0,  glc slc // store D
_buffer_store_b128 v[72:75], v6, s[sgprSrdD:sgprSrdD+3], 0, offen, offset:512,  glc slc // store D
_buffer_store_b128 v[76:79], v6, s[sgprSrdD:sgprSrdD+3], 0, offen, offset:1024,  glc slc // store D
s_mul_i32 s58, s[sgprStrideD1J], 64                // scale StrideD *= numRows(4) * bpe
	;; [unrolled: 6-line block ×3, first 2 shown]
s_add_u32  s[sgprSrdD+0], s[sgprSrdD+0], s58       // incToNextRow: gra SRD += inc(lower)
s_addc_u32  s[sgprSrdD+1], s[sgprSrdD+1], 0        // incToNextRow: gra SRD += inc(upper)
_buffer_store_b128 v[96:99], v6, s[sgprSrdD:sgprSrdD+3], 0, offen, offset:0,  glc slc // store D
_buffer_store_b128 v[100:103], v6, s[sgprSrdD:sgprSrdD+3], 0, offen, offset:512,  glc slc // store D
	;; [unrolled: 1-line block ×3, first 2 shown]
s_nop 0                                            // 1 wait state required when next inst writes vgprs held by previous dwordx4 store inst
s_branch label_GW_End_48                           // jump to end
GW_B0_E1_40:

/* edge=1, allocate 6 sgpr. perBatchTmpS=4 perBatchMaskS=2 perElementMaskS=0 elementsPerBatch=48 */
/* optSingleColVgpr=0 optSharedColVgpr=0 optSGPRUsage=BufferLoad_Edge_Mask optSrdIncForRow=0 */
s_sleep 3 // optimization: sync and wait
s_barrier

/******************************************/
/* Global Write Alpha Edge Batch #0 (d1,d0,vc1,vc0) = */
/*    (0,0,0,0:vw1); (0,1,0,0:vw1); (0,2,0,0:vw1); (1,0,0,0:vw1); (1,1,0,0:vw1); (1,2,0,0:vw1); (2,0,0,0:vw1); (2,1,0,0:vw1); (2,2,0,0:vw1); (3,0,0,0:vw1); (3,1,0,0:vw1); (3,2,0,0:vw1); (4,0,0,0:vw1); (4,1,0,0:vw1); (4,2,0,0:vw1); (5,0,0,0:vw1); (5,1,0,0:vw1); (5,2,0,0:vw1); (6,0,0,0:vw1); (6,1,0,0:vw1); (6,2,0,0:vw1); (7,0,0,0:vw1); (7,1,0,0:vw1); (7,2,0,0:vw1) */
/******************************************/

/* calc coords, apply mask, and issue loads (if necessary) */
/* (d1,vc1,d0,vc0)=(0,0,0,0) */
v_cmp_lt_u32 s[58:59], v0, s[sgprSizeI]            // coord0 < size0
v_cmp_lt_u32 s[62:63], v1, s[sgprSizeJ]            // coord1 < size1
s_and_b64 s[62:63], s[58:59], s[62:63]             // in0 && in1
_v_add_lshl_u32 v6, v3, v0, 0x4                    // scaleToBpe: accumulate d0 lower and *= bpe into Cin addr
v_cndmask_b32 v6, -1, v6, s[62:63]                 // LDD clip if OOB. offset
/* (d1,vc1,d0,vc0)=(0,0,1,0) */
_v_add_co_u32 v4, vcc, v0, 32                      // coord0.1: coord0 += d0*sg0*VW + vc0
v_cmp_lt_u32 s[58:59], v4, s[sgprSizeI]            // coord0 < size0
v_cmp_lt_u32 s[62:63], v1, s[sgprSizeJ]            // coord1 < size1
s_and_b64 s[62:63], s[58:59], s[62:63]             // in0 && in1
_v_add_lshl_u32 v7, v3, v4, 0x4                    // scaleToBpe: accumulate d0 lower and *= bpe into Cin addr
v_cndmask_b32 v7, -1, v7, s[62:63]                 // LDD clip if OOB. offset
/* (d1,vc1,d0,vc0)=(0,0,2,0) */
_v_add_co_u32 v4, vcc, v0, 64                      // coord0.1: coord0 += d0*sg0*VW + vc0
v_cmp_lt_u32 s[58:59], v4, s[sgprSizeI]            // coord0 < size0
v_cmp_lt_u32 s[62:63], v1, s[sgprSizeJ]            // coord1 < size1
s_and_b64 s[62:63], s[58:59], s[62:63]             // in0 && in1
_v_add_lshl_u32 v16, v3, v4, 0x4                   // scaleToBpe: accumulate d0 lower and *= bpe into Cin addr
v_cndmask_b32 v16, -1, v16, s[62:63]               // LDD clip if OOB. offset
/* (d1,vc1,d0,vc0)=(1,0,0,0) */
_v_add_co_u32 v1, vcc, v1, 4                       // coord1.1: coord1Vgpr += d1*sg1*VW + vc1

/* Fix for UseInitialStridesCD, emitAddressSetupCode */
s_mul_i32 s58, s[sgprStrideC1J], 4                 // scale stride
_v_add_u32 v2, v2, s58                             // ROWINC- Move cinRowPtr to next row
s_mul_i32 s58, s[sgprStrideD1J], 4                 // scale stride
_v_add_u32 v3, v3, s58                             // Move coutRowPtr to next row
v_cmp_lt_u32 s[58:59], v0, s[sgprSizeI]            // coord0 < size0
v_cmp_lt_u32 s[62:63], v1, s[sgprSizeJ]            // coord1 < size1
s_and_b64 s[62:63], s[58:59], s[62:63]             // in0 && in1
_v_add_lshl_u32 v17, v3, v0, 0x4                   // scaleToBpe: accumulate d0 lower and *= bpe into Cin addr
v_cndmask_b32 v17, -1, v17, s[62:63]               // LDD clip if OOB. offset
/* (d1,vc1,d0,vc0)=(1,0,1,0) */
_v_add_co_u32 v4, vcc, v0, 32                      // coord0.1: coord0 += d0*sg0*VW + vc0
v_cmp_lt_u32 s[58:59], v4, s[sgprSizeI]            // coord0 < size0
v_cmp_lt_u32 s[62:63], v1, s[sgprSizeJ]            // coord1 < size1
s_and_b64 s[62:63], s[58:59], s[62:63]             // in0 && in1
_v_add_lshl_u32 v18, v3, v4, 0x4                   // scaleToBpe: accumulate d0 lower and *= bpe into Cin addr
v_cndmask_b32 v18, -1, v18, s[62:63]               // LDD clip if OOB. offset
/* (d1,vc1,d0,vc0)=(1,0,2,0) */
_v_add_co_u32 v4, vcc, v0, 64                      // coord0.1: coord0 += d0*sg0*VW + vc0
v_cmp_lt_u32 s[58:59], v4, s[sgprSizeI]            // coord0 < size0
v_cmp_lt_u32 s[62:63], v1, s[sgprSizeJ]            // coord1 < size1
s_and_b64 s[62:63], s[58:59], s[62:63]             // in0 && in1
_v_add_lshl_u32 v19, v3, v4, 0x4                   // scaleToBpe: accumulate d0 lower and *= bpe into Cin addr
v_cndmask_b32 v19, -1, v19, s[62:63]               // LDD clip if OOB. offset
/* (d1,vc1,d0,vc0)=(2,0,0,0) */
_v_add_co_u32 v1, vcc, v1, 4                       // coord1.1: coord1Vgpr += d1*sg1*VW + vc1

/* Fix for UseInitialStridesCD, emitAddressSetupCode */
s_mul_i32 s58, s[sgprStrideC1J], 4                 // scale stride
_v_add_u32 v2, v2, s58                             // ROWINC- Move cinRowPtr to next row
s_mul_i32 s58, s[sgprStrideD1J], 4                 // scale stride
_v_add_u32 v3, v3, s58                             // Move coutRowPtr to next row
v_cmp_lt_u32 s[58:59], v0, s[sgprSizeI]            // coord0 < size0
v_cmp_lt_u32 s[62:63], v1, s[sgprSizeJ]            // coord1 < size1
s_and_b64 s[62:63], s[58:59], s[62:63]             // in0 && in1
_v_add_lshl_u32 v36, v3, v0, 0x4                   // scaleToBpe: accumulate d0 lower and *= bpe into Cin addr
v_cndmask_b32 v36, -1, v36, s[62:63]               // LDD clip if OOB. offset
/* (d1,vc1,d0,vc0)=(2,0,1,0) */
_v_add_co_u32 v4, vcc, v0, 32                      // coord0.1: coord0 += d0*sg0*VW + vc0
v_cmp_lt_u32 s[58:59], v4, s[sgprSizeI]            // coord0 < size0
v_cmp_lt_u32 s[62:63], v1, s[sgprSizeJ]            // coord1 < size1
s_and_b64 s[62:63], s[58:59], s[62:63]             // in0 && in1
_v_add_lshl_u32 v37, v3, v4, 0x4                   // scaleToBpe: accumulate d0 lower and *= bpe into Cin addr
v_cndmask_b32 v37, -1, v37, s[62:63]               // LDD clip if OOB. offset
	;; [unrolled: 27-line block ×3, first 2 shown]
/* (d1,vc1,d0,vc0)=(3,0,2,0) */
_v_add_co_u32 v4, vcc, v0, 64                      // coord0.1: coord0 += d0*sg0*VW + vc0
v_cmp_lt_u32 s[58:59], v4, s[sgprSizeI]            // coord0 < size0
v_cmp_lt_u32 s[62:63], v1, s[sgprSizeJ]            // coord1 < size1
s_and_b64 s[62:63], s[58:59], s[62:63]             // in0 && in1
_v_add_lshl_u32 v57, v3, v4, 0x4                   // scaleToBpe: accumulate d0 lower and *= bpe into Cin addr
v_cndmask_b32 v57, -1, v57, s[62:63]               // LDD clip if OOB. offset
/* (d1,vc1,d0,vc0)=(4,0,0,0) */
_v_add_co_u32 v1, vcc, v1, 20                      // coord1.1: coord1Vgpr += d1*sg1*VW + vc1

/* Fix for UseInitialStridesCD, emitAddressSetupCode */
s_mul_i32 s58, s[sgprStrideC1J], 20                // scale stride
_v_add_u32 v2, v2, s58                             // ROWINC- Move cinRowPtr to next row
s_mul_i32 s58, s[sgprStrideD1J], 20                // scale stride
_v_add_u32 v3, v3, s58                             // Move coutRowPtr to next row
v_cmp_lt_u32 s[58:59], v0, s[sgprSizeI]            // coord0 < size0
v_cmp_lt_u32 s[62:63], v1, s[sgprSizeJ]            // coord1 < size1
s_and_b64 s[62:63], s[58:59], s[62:63]             // in0 && in1
_v_add_lshl_u32 v58, v3, v0, 0x4                   // scaleToBpe: accumulate d0 lower and *= bpe into Cin addr
v_cndmask_b32 v58, -1, v58, s[62:63]               // LDD clip if OOB. offset
/* (d1,vc1,d0,vc0)=(4,0,1,0) */
_v_add_co_u32 v4, vcc, v0, 32                      // coord0.1: coord0 += d0*sg0*VW + vc0
v_cmp_lt_u32 s[58:59], v4, s[sgprSizeI]            // coord0 < size0
v_cmp_lt_u32 s[62:63], v1, s[sgprSizeJ]            // coord1 < size1
s_and_b64 s[62:63], s[58:59], s[62:63]             // in0 && in1
_v_add_lshl_u32 v59, v3, v4, 0x4                   // scaleToBpe: accumulate d0 lower and *= bpe into Cin addr
v_cndmask_b32 v59, -1, v59, s[62:63]               // LDD clip if OOB. offset
/* (d1,vc1,d0,vc0)=(4,0,2,0) */
_v_add_co_u32 v4, vcc, v0, 64                      // coord0.1: coord0 += d0*sg0*VW + vc0
v_cmp_lt_u32 s[58:59], v4, s[sgprSizeI]            // coord0 < size0
v_cmp_lt_u32 s[62:63], v1, s[sgprSizeJ]            // coord1 < size1
s_and_b64 s[62:63], s[58:59], s[62:63]             // in0 && in1
_v_add_lshl_u32 v76, v3, v4, 0x4                   // scaleToBpe: accumulate d0 lower and *= bpe into Cin addr
v_cndmask_b32 v76, -1, v76, s[62:63]               // LDD clip if OOB. offset
/* (d1,vc1,d0,vc0)=(5,0,0,0) */
_v_add_co_u32 v1, vcc, v1, 4                       // coord1.1: coord1Vgpr += d1*sg1*VW + vc1

/* Fix for UseInitialStridesCD, emitAddressSetupCode */
s_mul_i32 s58, s[sgprStrideC1J], 4                 // scale stride
_v_add_u32 v2, v2, s58                             // ROWINC- Move cinRowPtr to next row
s_mul_i32 s58, s[sgprStrideD1J], 4                 // scale stride
_v_add_u32 v3, v3, s58                             // Move coutRowPtr to next row
v_cmp_lt_u32 s[58:59], v0, s[sgprSizeI]            // coord0 < size0
v_cmp_lt_u32 s[62:63], v1, s[sgprSizeJ]            // coord1 < size1
s_and_b64 s[62:63], s[58:59], s[62:63]             // in0 && in1
_v_add_lshl_u32 v77, v3, v0, 0x4                   // scaleToBpe: accumulate d0 lower and *= bpe into Cin addr
v_cndmask_b32 v77, -1, v77, s[62:63]               // LDD clip if OOB. offset
/* (d1,vc1,d0,vc0)=(5,0,1,0) */
_v_add_co_u32 v4, vcc, v0, 32                      // coord0.1: coord0 += d0*sg0*VW + vc0
v_cmp_lt_u32 s[58:59], v4, s[sgprSizeI]            // coord0 < size0
v_cmp_lt_u32 s[62:63], v1, s[sgprSizeJ]            // coord1 < size1
s_and_b64 s[62:63], s[58:59], s[62:63]             // in0 && in1
_v_add_lshl_u32 v78, v3, v4, 0x4                   // scaleToBpe: accumulate d0 lower and *= bpe into Cin addr
v_cndmask_b32 v78, -1, v78, s[62:63]               // LDD clip if OOB. offset
/* (d1,vc1,d0,vc0)=(5,0,2,0) */
_v_add_co_u32 v4, vcc, v0, 64                      // coord0.1: coord0 += d0*sg0*VW + vc0
v_cmp_lt_u32 s[58:59], v4, s[sgprSizeI]            // coord0 < size0
v_cmp_lt_u32 s[62:63], v1, s[sgprSizeJ]            // coord1 < size1
s_and_b64 s[62:63], s[58:59], s[62:63]             // in0 && in1
_v_add_lshl_u32 v79, v3, v4, 0x4                   // scaleToBpe: accumulate d0 lower and *= bpe into Cin addr
v_cndmask_b32 v79, -1, v79, s[62:63]               // LDD clip if OOB. offset
/* (d1,vc1,d0,vc0)=(6,0,0,0) */
_v_add_co_u32 v1, vcc, v1, 4                       // coord1.1: coord1Vgpr += d1*sg1*VW + vc1

/* Fix for UseInitialStridesCD, emitAddressSetupCode */
s_mul_i32 s58, s[sgprStrideC1J], 4                 // scale stride
_v_add_u32 v2, v2, s58                             // ROWINC- Move cinRowPtr to next row
s_mul_i32 s58, s[sgprStrideD1J], 4                 // scale stride
_v_add_u32 v3, v3, s58                             // Move coutRowPtr to next row
v_cmp_lt_u32 s[58:59], v0, s[sgprSizeI]            // coord0 < size0
v_cmp_lt_u32 s[62:63], v1, s[sgprSizeJ]            // coord1 < size1
s_and_b64 s[62:63], s[58:59], s[62:63]             // in0 && in1
_v_add_lshl_u32 v87, v3, v0, 0x4                   // scaleToBpe: accumulate d0 lower and *= bpe into Cin addr
v_cndmask_b32 v87, -1, v87, s[62:63]               // LDD clip if OOB. offset
/* (d1,vc1,d0,vc0)=(6,0,1,0) */
_v_add_co_u32 v4, vcc, v0, 32                      // coord0.1: coord0 += d0*sg0*VW + vc0
v_cmp_lt_u32 s[58:59], v4, s[sgprSizeI]            // coord0 < size0
v_cmp_lt_u32 s[62:63], v1, s[sgprSizeJ]            // coord1 < size1
s_and_b64 s[62:63], s[58:59], s[62:63]             // in0 && in1
_v_add_lshl_u32 v104, v3, v4, 0x4                  // scaleToBpe: accumulate d0 lower and *= bpe into Cin addr
v_cndmask_b32 v104, -1, v104, s[62:63]             // LDD clip if OOB. offset
/* (d1,vc1,d0,vc0)=(6,0,2,0) */
_v_add_co_u32 v4, vcc, v0, 64                      // coord0.1: coord0 += d0*sg0*VW + vc0
v_cmp_lt_u32 s[58:59], v4, s[sgprSizeI]            // coord0 < size0
v_cmp_lt_u32 s[62:63], v1, s[sgprSizeJ]            // coord1 < size1
s_and_b64 s[62:63], s[58:59], s[62:63]             // in0 && in1
_v_add_lshl_u32 v105, v3, v4, 0x4                  // scaleToBpe: accumulate d0 lower and *= bpe into Cin addr
v_cndmask_b32 v105, -1, v105, s[62:63]             // LDD clip if OOB. offset
/* (d1,vc1,d0,vc0)=(7,0,0,0) */
_v_add_co_u32 v1, vcc, v1, 4                       // coord1.1: coord1Vgpr += d1*sg1*VW + vc1

/* Fix for UseInitialStridesCD, emitAddressSetupCode */
s_mul_i32 s58, s[sgprStrideC1J], 4                 // scale stride
_v_add_u32 v2, v2, s58                             // ROWINC- Move cinRowPtr to next row
s_mul_i32 s58, s[sgprStrideD1J], 4                 // scale stride
_v_add_u32 v3, v3, s58                             // Move coutRowPtr to next row
v_cmp_lt_u32 s[58:59], v0, s[sgprSizeI]            // coord0 < size0
v_cmp_lt_u32 s[62:63], v1, s[sgprSizeJ]            // coord1 < size1
s_and_b64 s[62:63], s[58:59], s[62:63]             // in0 && in1
_v_add_lshl_u32 v106, v3, v0, 0x4                  // scaleToBpe: accumulate d0 lower and *= bpe into Cin addr
v_cndmask_b32 v106, -1, v106, s[62:63]             // LDD clip if OOB. offset
/* (d1,vc1,d0,vc0)=(7,0,1,0) */
_v_add_co_u32 v4, vcc, v0, 32                      // coord0.1: coord0 += d0*sg0*VW + vc0
v_cmp_lt_u32 s[58:59], v4, s[sgprSizeI]            // coord0 < size0
v_cmp_lt_u32 s[62:63], v1, s[sgprSizeJ]            // coord1 < size1
s_and_b64 s[62:63], s[58:59], s[62:63]             // in0 && in1
_v_add_lshl_u32 v107, v3, v4, 0x4                  // scaleToBpe: accumulate d0 lower and *= bpe into Cin addr
v_cndmask_b32 v107, -1, v107, s[62:63]             // LDD clip if OOB. offset
/* (d1,vc1,d0,vc0)=(7,0,2,0) */
_v_add_co_u32 v4, vcc, v0, 64                      // coord0.1: coord0 += d0*sg0*VW + vc0
v_cmp_lt_u32 s[58:59], v4, s[sgprSizeI]            // coord0 < size0
v_cmp_lt_u32 s[62:63], v1, s[sgprSizeJ]            // coord1 < size1
s_and_b64 s[62:63], s[58:59], s[62:63]             // in0 && in1
_v_add_lshl_u32 v124, v3, v4, 0x4                  // scaleToBpe: accumulate d0 lower and *= bpe into Cin addr
v_cndmask_b32 v124, -1, v124, s[62:63]             // LDD clip if OOB. offset
v_accvgpr_read_b32 v[vgprValuC+8], acc0 // copy acc to vreg[0]
v_accvgpr_read_b32 v[vgprValuC+9], acc1 // copy acc to vreg[1]
v_accvgpr_read_b32 v[vgprValuC+10], acc48 // copy acc to vreg[2]
v_accvgpr_read_b32 v[vgprValuC+11], acc49 // copy acc to vreg[3]
v_accvgpr_read_b32 v[vgprValuC+12], acc8 // copy acc to vreg[4]
v_accvgpr_read_b32 v[vgprValuC+13], acc9 // copy acc to vreg[5]
v_accvgpr_read_b32 v[vgprValuC+14], acc56 // copy acc to vreg[6]
v_accvgpr_read_b32 v[vgprValuC+15], acc57 // copy acc to vreg[7]
v_accvgpr_read_b32 v[vgprValuC+20], acc16 // copy acc to vreg[8]
v_accvgpr_read_b32 v[vgprValuC+21], acc17 // copy acc to vreg[9]
v_accvgpr_read_b32 v[vgprValuC+22], acc64 // copy acc to vreg[10]
v_accvgpr_read_b32 v[vgprValuC+23], acc65 // copy acc to vreg[11]
v_accvgpr_read_b32 v[vgprValuC+24], acc2 // copy acc to vreg[12]
v_accvgpr_read_b32 v[vgprValuC+25], acc3 // copy acc to vreg[13]
v_accvgpr_read_b32 v[vgprValuC+26], acc50 // copy acc to vreg[14]
v_accvgpr_read_b32 v[vgprValuC+27], acc51 // copy acc to vreg[15]
v_accvgpr_read_b32 v[vgprValuC+28], acc10 // copy acc to vreg[16]
v_accvgpr_read_b32 v[vgprValuC+29], acc11 // copy acc to vreg[17]
v_accvgpr_read_b32 v[vgprValuC+30], acc58 // copy acc to vreg[18]
v_accvgpr_read_b32 v[vgprValuC+31], acc59 // copy acc to vreg[19]
v_accvgpr_read_b32 v[vgprValuC+32], acc18 // copy acc to vreg[20]
v_accvgpr_read_b32 v[vgprValuC+33], acc19 // copy acc to vreg[21]
v_accvgpr_read_b32 v[vgprValuC+34], acc66 // copy acc to vreg[22]
v_accvgpr_read_b32 v[vgprValuC+35], acc67 // copy acc to vreg[23]
v_accvgpr_read_b32 v[vgprValuC+40], acc4 // copy acc to vreg[24]
v_accvgpr_read_b32 v[vgprValuC+41], acc5 // copy acc to vreg[25]
v_accvgpr_read_b32 v[vgprValuC+42], acc52 // copy acc to vreg[26]
v_accvgpr_read_b32 v[vgprValuC+43], acc53 // copy acc to vreg[27]
v_accvgpr_read_b32 v[vgprValuC+44], acc12 // copy acc to vreg[28]
v_accvgpr_read_b32 v[vgprValuC+45], acc13 // copy acc to vreg[29]
v_accvgpr_read_b32 v[vgprValuC+46], acc60 // copy acc to vreg[30]
v_accvgpr_read_b32 v[vgprValuC+47], acc61 // copy acc to vreg[31]
v_accvgpr_read_b32 v[vgprValuC+48], acc20 // copy acc to vreg[32]
v_accvgpr_read_b32 v[vgprValuC+49], acc21 // copy acc to vreg[33]
v_accvgpr_read_b32 v[vgprValuC+50], acc68 // copy acc to vreg[34]
v_accvgpr_read_b32 v[vgprValuC+51], acc69 // copy acc to vreg[35]
v_accvgpr_read_b32 v[vgprValuC+52], acc6 // copy acc to vreg[36]
v_accvgpr_read_b32 v[vgprValuC+53], acc7 // copy acc to vreg[37]
v_accvgpr_read_b32 v[vgprValuC+54], acc54 // copy acc to vreg[38]
v_accvgpr_read_b32 v[vgprValuC+55], acc55 // copy acc to vreg[39]
v_accvgpr_read_b32 v[vgprValuC+60], acc14 // copy acc to vreg[40]
v_accvgpr_read_b32 v[vgprValuC+61], acc15 // copy acc to vreg[41]
v_accvgpr_read_b32 v[vgprValuC+62], acc62 // copy acc to vreg[42]
v_accvgpr_read_b32 v[vgprValuC+63], acc63 // copy acc to vreg[43]
v_accvgpr_read_b32 v[vgprValuC+64], acc22 // copy acc to vreg[44]
v_accvgpr_read_b32 v[vgprValuC+65], acc23 // copy acc to vreg[45]
v_accvgpr_read_b32 v[vgprValuC+66], acc70 // copy acc to vreg[46]
v_accvgpr_read_b32 v[vgprValuC+67], acc71 // copy acc to vreg[47]
v_accvgpr_read_b32 v[vgprValuC+68], acc24 // copy acc to vreg[48]
v_accvgpr_read_b32 v[vgprValuC+69], acc25 // copy acc to vreg[49]
v_accvgpr_read_b32 v[vgprValuC+70], acc72 // copy acc to vreg[50]
v_accvgpr_read_b32 v[vgprValuC+71], acc73 // copy acc to vreg[51]
v_accvgpr_read_b32 v[vgprValuC+72], acc32 // copy acc to vreg[52]
v_accvgpr_read_b32 v[vgprValuC+73], acc33 // copy acc to vreg[53]
v_accvgpr_read_b32 v[vgprValuC+74], acc80 // copy acc to vreg[54]
v_accvgpr_read_b32 v[vgprValuC+75], acc81 // copy acc to vreg[55]
v_accvgpr_read_b32 v[vgprValuC+80], acc40 // copy acc to vreg[56]
v_accvgpr_read_b32 v[vgprValuC+81], acc41 // copy acc to vreg[57]
v_accvgpr_read_b32 v[vgprValuC+82], acc88 // copy acc to vreg[58]
v_accvgpr_read_b32 v[vgprValuC+83], acc89 // copy acc to vreg[59]
v_accvgpr_read_b32 v[vgprValuC+88], acc26 // copy acc to vreg[60]
v_accvgpr_read_b32 v[vgprValuC+89], acc27 // copy acc to vreg[61]
v_accvgpr_read_b32 v[vgprValuC+90], acc74 // copy acc to vreg[62]
v_accvgpr_read_b32 v[vgprValuC+91], acc75 // copy acc to vreg[63]
v_accvgpr_read_b32 v[vgprValuC+92], acc34 // copy acc to vreg[64]
v_accvgpr_read_b32 v[vgprValuC+93], acc35 // copy acc to vreg[65]
v_accvgpr_read_b32 v[vgprValuC+94], acc82 // copy acc to vreg[66]
v_accvgpr_read_b32 v[vgprValuC+95], acc83 // copy acc to vreg[67]
v_accvgpr_read_b32 v[vgprValuC+96], acc42 // copy acc to vreg[68]
v_accvgpr_read_b32 v[vgprValuC+97], acc43 // copy acc to vreg[69]
v_accvgpr_read_b32 v[vgprValuC+98], acc90 // copy acc to vreg[70]
v_accvgpr_read_b32 v[vgprValuC+99], acc91 // copy acc to vreg[71]
v_accvgpr_read_b32 v[vgprValuC+100], acc28 // copy acc to vreg[72]
v_accvgpr_read_b32 v[vgprValuC+101], acc29 // copy acc to vreg[73]
v_accvgpr_read_b32 v[vgprValuC+102], acc76 // copy acc to vreg[74]
v_accvgpr_read_b32 v[vgprValuC+103], acc77 // copy acc to vreg[75]
v_accvgpr_read_b32 v[vgprValuC+108], acc36 // copy acc to vreg[76]
v_accvgpr_read_b32 v[vgprValuC+109], acc37 // copy acc to vreg[77]
v_accvgpr_read_b32 v[vgprValuC+110], acc84 // copy acc to vreg[78]
v_accvgpr_read_b32 v[vgprValuC+111], acc85 // copy acc to vreg[79]
v_accvgpr_read_b32 v[vgprValuC+112], acc44 // copy acc to vreg[80]
v_accvgpr_read_b32 v[vgprValuC+113], acc45 // copy acc to vreg[81]
v_accvgpr_read_b32 v[vgprValuC+114], acc92 // copy acc to vreg[82]
v_accvgpr_read_b32 v[vgprValuC+115], acc93 // copy acc to vreg[83]
v_accvgpr_read_b32 v[vgprValuC+116], acc30 // copy acc to vreg[84]
v_accvgpr_read_b32 v[vgprValuC+117], acc31 // copy acc to vreg[85]
v_accvgpr_read_b32 v[vgprValuC+118], acc78 // copy acc to vreg[86]
v_accvgpr_read_b32 v[vgprValuC+119], acc79 // copy acc to vreg[87]
v_accvgpr_read_b32 v[vgprValuC+120], acc38 // copy acc to vreg[88]
v_accvgpr_read_b32 v[vgprValuC+121], acc39 // copy acc to vreg[89]
v_accvgpr_read_b32 v[vgprValuC+122], acc86 // copy acc to vreg[90]
v_accvgpr_read_b32 v[vgprValuC+123], acc87 // copy acc to vreg[91]
v_accvgpr_read_b32 v[vgprValuC+128], acc46 // copy acc to vreg[92]
v_accvgpr_read_b32 v[vgprValuC+129], acc47 // copy acc to vreg[93]
v_accvgpr_read_b32 v[vgprValuC+130], acc94 // copy acc to vreg[94]
v_accvgpr_read_b32 v[vgprValuC+131], acc95 // copy acc to vreg[95]
s_nop 1                                            // 2 wait states required before reading vgpr

/* rC *= alpha batchElements=[(0, 0, 0, 0), (0, 1, 0, 0), (0, 2, 0, 0), (1, 0, 0, 0), (1, 1, 0, 0), (1, 2, 0, 0), (2, 0, 0, 0), (2, 1, 0, 0), (2, 2, 0, 0), (3, 0, 0, 0), (3, 1, 0, 0), (3, 2, 0, 0), (4, 0, 0, 0), (4, 1, 0, 0), (4, 2, 0, 0), (5, 0, 0, 0), (5, 1, 0, 0), (5, 2, 0, 0), (6, 0, 0, 0), (6, 1, 0, 0), (6, 2, 0, 0), (7, 0, 0, 0), (7, 1, 0, 0), (7, 2, 0, 0)] */
v_mul_f64 v[126:127], s[sgprAlpha+0:sgprAlpha+0+1], v[vgprValuC+8:vgprValuC+8+1] // 
v_mul_f64 v[132:133], s[sgprAlpha+2:sgprAlpha+2+1], v[vgprValuC+8:vgprValuC+8+1] // 
v_fma_f64 v[vgprValuC+8:vgprValuC+8+1], s[sgprAlpha+2:sgprAlpha+2+1], -v[vgprValuC+10:vgprValuC+10+1], v[126:127]
v_fma_f64 v[vgprValuC+10:vgprValuC+10+1], s[sgprAlpha+0:sgprAlpha+0+1], v[vgprValuC+10:vgprValuC+10+1], v[132:133]
v_mul_f64 v[126:127], s[sgprAlpha+0:sgprAlpha+0+1], v[vgprValuC+12:vgprValuC+12+1] // 
v_mul_f64 v[132:133], s[sgprAlpha+2:sgprAlpha+2+1], v[vgprValuC+12:vgprValuC+12+1] // 
v_fma_f64 v[vgprValuC+12:vgprValuC+12+1], s[sgprAlpha+2:sgprAlpha+2+1], -v[vgprValuC+14:vgprValuC+14+1], v[126:127]
v_fma_f64 v[vgprValuC+14:vgprValuC+14+1], s[sgprAlpha+0:sgprAlpha+0+1], v[vgprValuC+14:vgprValuC+14+1], v[132:133]
	;; [unrolled: 4-line block ×24, first 2 shown]

/* apply mask, calc new C and issue writes */
_buffer_store_b128 v[8:11], v6, s[sgprSrdD:sgprSrdD+3], 0, offen, offset:0,  glc slc // store D
_buffer_store_b128 v[12:15], v7, s[sgprSrdD:sgprSrdD+3], 0, offen, offset:0,  glc slc // store D
	;; [unrolled: 1-line block ×24, first 2 shown]
s_nop 0                                            // 1 wait state required when next inst writes vgprs held by previous dwordx4 store inst
s_branch label_GW_End_48                           // jump to end
GW_Beta_49:
s_mov_b32 s61, 0x0                                 // STATIC_DIV: divisior=96
s_mul_i32 s60, 0x555, s[sgprSizeI]                 // tmp1 = dividend * magic hi
s_lshl_b64 s[60:61], s[60:61], 0x10                // left shift 16 bits
s_mul_i32 s59, s[sgprSizeI], 0x5556                // tmp0 = dividend * magic lo
s_add_u32 s60, s59, s60                            // add lo
s_addc_u32 s61, s61, 0x0                           // add hi
s_lshr_b64 s[60:61], s[60:61], 0x21                // tmp1 = (dividend * magic) << shift
s_mov_b32 s59, s60                                 // quotient
s_mul_i32 s60, s59, 0x60                           // quotient*divisor
s_sub_u32 s58, s[sgprSizeI], s60                   // rReg = dividend - quotient*divisor
s_add_u32 s59, -0x1, s[sgprNumWorkGroups0]         // 
s_cmp_ge_u32 s[sgprWorkGroup0], s59                // wg0 >= nwg0-1 ?
s_cselect_b32 s58, s58, 0                          // set rMT0
s_cmpk_gt_u32 s58, 0x0                             // rMT0 > 0
s_cbranch_scc1 GW_B1_E1_47                         // jump if edges required
s_and_b32 s58, 63, s[sgprSizeJ]                    // s58 = s[sgprSizeJ] % 64
s_add_u32 s59, -0x1, s[sgprNumWorkGroups1]         // 
s_cmp_ge_u32 s[sgprWorkGroup1], s59                // wg1 >= nwg1-1
s_cselect_b32 s58, s58, 0                          // set rMT1
s_cmpk_gt_u32 s58, 0x0                             // rMT1 > 0
s_cbranch_scc1 GW_B1_E1_47                         // jump if edges required
GW_B1_E0_44:

/* edge=0, allocate 2 sgpr. perBatchTmpS=2 perBatchMaskS=0 perElementMaskS=0 elementsPerBatch=30 */
/* optSingleColVgpr=1 optSharedColVgpr=0 optSGPRUsage=BufferLoad_Mask optSrdIncForRow=1 */
s_sleep 3 // optimization: sync and wait
s_barrier

/******************************************/
/* Global Write Alpha Beta Batch #0 (d1,d0,vc1,vc0) = */
/*    (0,0,0,0:vw1); (0,1,0,0:vw1); (0,2,0,0:vw1); (1,0,0,0:vw1); (1,1,0,0:vw1); (1,2,0,0:vw1); (2,0,0,0:vw1); (2,1,0,0:vw1); (2,2,0,0:vw1); (3,0,0,0:vw1); (3,1,0,0:vw1); (3,2,0,0:vw1); (4,0,0,0:vw1); (4,1,0,0:vw1); (4,2,0,0:vw1); (5,0,0,0:vw1); (5,1,0,0:vw1); (5,2,0,0:vw1); (6,0,0,0:vw1); (6,1,0,0:vw1); (6,2,0,0:vw1); (7,0,0,0:vw1); (7,1,0,0:vw1); (7,2,0,0:vw1) */
/******************************************/

/* calc coords, apply mask, and issue loads (if necessary) */
/* (d1,vc1,d0,vc0)=(0,0,0,0) */
_v_add_lshl_u32 v7, v2, v0, 0x4                    // optSingleColVgpr scaleToBpe: sharedAddrVgpr <- cinRowPtr + coord0, scaled by BPE. BSHERE:coord0=0, coord0Vgpr=0
_buffer_load_b128 v[8:11], v7, s[sgprSrdC:sgprSrdC+3], 0, offen offset:0,  glc slc // load C for beta calc
/* (d1,vc1,d0,vc0)=(0,0,1,0) */
_buffer_load_b128 v[16:19], v7, s[sgprSrdC:sgprSrdC+3], 0, offen offset:512,  glc slc // load C for beta calc
/* (d1,vc1,d0,vc0)=(0,0,2,0) */
_buffer_load_b128 v[24:27], v7, s[sgprSrdC:sgprSrdC+3], 0, offen offset:1024,  glc slc // load C for beta calc
/* (d1,vc1,d0,vc0)=(1,0,0,0) */
s_mul_i32 s58, s[sgprStrideC1J], 64                // scale StrideC *= numRows(4) * bpe
s_add_u32  s[sgprSrdC+0], s[sgprSrdC+0], s58       // incToNextRow: gra SRD += inc(lower)
s_addc_u32  s[sgprSrdC+1], s[sgprSrdC+1], 0        // incToNextRow: gra SRD += inc(upper)
_buffer_load_b128 v[32:35], v7, s[sgprSrdC:sgprSrdC+3], 0, offen offset:0,  glc slc // load C for beta calc
/* (d1,vc1,d0,vc0)=(1,0,1,0) */
_buffer_load_b128 v[40:43], v7, s[sgprSrdC:sgprSrdC+3], 0, offen offset:512,  glc slc // load C for beta calc
/* (d1,vc1,d0,vc0)=(1,0,2,0) */
_buffer_load_b128 v[48:51], v7, s[sgprSrdC:sgprSrdC+3], 0, offen offset:1024,  glc slc // load C for beta calc
/* (d1,vc1,d0,vc0)=(2,0,0,0) */
s_mul_i32 s58, s[sgprStrideC1J], 64                // scale StrideC *= numRows(4) * bpe
s_add_u32  s[sgprSrdC+0], s[sgprSrdC+0], s58       // incToNextRow: gra SRD += inc(lower)
s_addc_u32  s[sgprSrdC+1], s[sgprSrdC+1], 0        // incToNextRow: gra SRD += inc(upper)
_buffer_load_b128 v[56:59], v7, s[sgprSrdC:sgprSrdC+3], 0, offen offset:0,  glc slc // load C for beta calc
/* (d1,vc1,d0,vc0)=(2,0,1,0) */
_buffer_load_b128 v[64:67], v7, s[sgprSrdC:sgprSrdC+3], 0, offen offset:512,  glc slc // load C for beta calc
/* (d1,vc1,d0,vc0)=(2,0,2,0) */
_buffer_load_b128 v[72:75], v7, s[sgprSrdC:sgprSrdC+3], 0, offen offset:1024,  glc slc // load C for beta calc
/* (d1,vc1,d0,vc0)=(3,0,0,0) */
s_mul_i32 s58, s[sgprStrideC1J], 64                // scale StrideC *= numRows(4) * bpe
s_add_u32  s[sgprSrdC+0], s[sgprSrdC+0], s58       // incToNextRow: gra SRD += inc(lower)
s_addc_u32  s[sgprSrdC+1], s[sgprSrdC+1], 0        // incToNextRow: gra SRD += inc(upper)
_buffer_load_b128 v[80:83], v7, s[sgprSrdC:sgprSrdC+3], 0, offen offset:0,  glc slc // load C for beta calc
/* (d1,vc1,d0,vc0)=(3,0,1,0) */
_buffer_load_b128 v[92:95], v7, s[sgprSrdC:sgprSrdC+3], 0, offen offset:512,  glc slc // load C for beta calc
/* (d1,vc1,d0,vc0)=(3,0,2,0) */
	;; [unrolled: 2-line block ×3, first 2 shown]
s_mul_i32 s58, s[sgprStrideC1J], 320               // scale StrideC *= numRows(20) * bpe
s_add_u32  s[sgprSrdC+0], s[sgprSrdC+0], s58       // incToNextRow: gra SRD += inc(lower)
s_addc_u32  s[sgprSrdC+1], s[sgprSrdC+1], 0        // incToNextRow: gra SRD += inc(upper)
_buffer_load_b128 v[108:111], v7, s[sgprSrdC:sgprSrdC+3], 0, offen offset:0,  glc slc // load C for beta calc
/* (d1,vc1,d0,vc0)=(4,0,1,0) */
_buffer_load_b128 v[116:119], v7, s[sgprSrdC:sgprSrdC+3], 0, offen offset:512,  glc slc // load C for beta calc
/* (d1,vc1,d0,vc0)=(4,0,2,0) */
_buffer_load_b128 v[124:127], v7, s[sgprSrdC:sgprSrdC+3], 0, offen offset:1024,  glc slc // load C for beta calc
/* (d1,vc1,d0,vc0)=(5,0,0,0) */
s_mul_i32 s58, s[sgprStrideC1J], 64                // scale StrideC *= numRows(4) * bpe
s_add_u32  s[sgprSrdC+0], s[sgprSrdC+0], s58       // incToNextRow: gra SRD += inc(lower)
s_addc_u32  s[sgprSrdC+1], s[sgprSrdC+1], 0        // incToNextRow: gra SRD += inc(upper)
_buffer_load_b128 v[132:135], v7, s[sgprSrdC:sgprSrdC+3], 0, offen offset:0,  glc slc // load C for beta calc
/* (d1,vc1,d0,vc0)=(5,0,1,0) */
_buffer_load_b128 v[140:143], v7, s[sgprSrdC:sgprSrdC+3], 0, offen offset:512,  glc slc // load C for beta calc
/* (d1,vc1,d0,vc0)=(5,0,2,0) */
_buffer_load_b128 v[148:151], v7, s[sgprSrdC:sgprSrdC+3], 0, offen offset:1024,  glc slc // load C for beta calc
/* (d1,vc1,d0,vc0)=(6,0,0,0) */
s_mul_i32 s58, s[sgprStrideC1J], 64                // scale StrideC *= numRows(4) * bpe
s_add_u32  s[sgprSrdC+0], s[sgprSrdC+0], s58       // incToNextRow: gra SRD += inc(lower)
s_addc_u32  s[sgprSrdC+1], s[sgprSrdC+1], 0        // incToNextRow: gra SRD += inc(upper)
_buffer_load_b128 v[156:159], v7, s[sgprSrdC:sgprSrdC+3], 0, offen offset:0,  glc slc // load C for beta calc
/* (d1,vc1,d0,vc0)=(6,0,1,0) */
_buffer_load_b128 v[164:167], v7, s[sgprSrdC:sgprSrdC+3], 0, offen offset:512,  glc slc // load C for beta calc
/* (d1,vc1,d0,vc0)=(6,0,2,0) */
_buffer_load_b128 v[172:175], v7, s[sgprSrdC:sgprSrdC+3], 0, offen offset:1024,  glc slc // load C for beta calc
/* (d1,vc1,d0,vc0)=(7,0,0,0) */
s_mul_i32 s58, s[sgprStrideC1J], 64                // scale StrideC *= numRows(4) * bpe
s_add_u32  s[sgprSrdC+0], s[sgprSrdC+0], s58       // incToNextRow: gra SRD += inc(lower)
s_addc_u32  s[sgprSrdC+1], s[sgprSrdC+1], 0        // incToNextRow: gra SRD += inc(upper)
_buffer_load_b128 v[180:183], v7, s[sgprSrdC:sgprSrdC+3], 0, offen offset:0,  glc slc // load C for beta calc
/* (d1,vc1,d0,vc0)=(7,0,1,0) */
_buffer_load_b128 v[188:191], v7, s[sgprSrdC:sgprSrdC+3], 0, offen offset:512,  glc slc // load C for beta calc
/* (d1,vc1,d0,vc0)=(7,0,2,0) */
_buffer_load_b128 v[196:199], v7, s[sgprSrdC:sgprSrdC+3], 0, offen offset:1024,  glc slc // load C for beta calc
_v_add_lshl_u32 v6, v3, v0, 0x4                    // optSingleColVgpr scaleToBpe: sharedAddrVgpr <- cinRowPtr + coord0, scaled by BPE. BSHERE:coord0=0, coord0Vgpr=0
s_sleep 3 // optimization: sync and wait
s_barrier
v_accvgpr_read_b32 v[vgprValuC+12], acc0 // copy acc to vreg[0]
v_accvgpr_read_b32 v[vgprValuC+13], acc1 // copy acc to vreg[1]
v_accvgpr_read_b32 v[vgprValuC+14], acc48 // copy acc to vreg[2]
v_accvgpr_read_b32 v[vgprValuC+15], acc49 // copy acc to vreg[3]
v_accvgpr_read_b32 v[vgprValuC+20], acc8 // copy acc to vreg[4]
v_accvgpr_read_b32 v[vgprValuC+21], acc9 // copy acc to vreg[5]
v_accvgpr_read_b32 v[vgprValuC+22], acc56 // copy acc to vreg[6]
v_accvgpr_read_b32 v[vgprValuC+23], acc57 // copy acc to vreg[7]
v_accvgpr_read_b32 v[vgprValuC+28], acc16 // copy acc to vreg[8]
v_accvgpr_read_b32 v[vgprValuC+29], acc17 // copy acc to vreg[9]
v_accvgpr_read_b32 v[vgprValuC+30], acc64 // copy acc to vreg[10]
v_accvgpr_read_b32 v[vgprValuC+31], acc65 // copy acc to vreg[11]
v_accvgpr_read_b32 v[vgprValuC+36], acc2 // copy acc to vreg[12]
v_accvgpr_read_b32 v[vgprValuC+37], acc3 // copy acc to vreg[13]
v_accvgpr_read_b32 v[vgprValuC+38], acc50 // copy acc to vreg[14]
v_accvgpr_read_b32 v[vgprValuC+39], acc51 // copy acc to vreg[15]
v_accvgpr_read_b32 v[vgprValuC+44], acc10 // copy acc to vreg[16]
v_accvgpr_read_b32 v[vgprValuC+45], acc11 // copy acc to vreg[17]
v_accvgpr_read_b32 v[vgprValuC+46], acc58 // copy acc to vreg[18]
v_accvgpr_read_b32 v[vgprValuC+47], acc59 // copy acc to vreg[19]
v_accvgpr_read_b32 v[vgprValuC+52], acc18 // copy acc to vreg[20]
v_accvgpr_read_b32 v[vgprValuC+53], acc19 // copy acc to vreg[21]
v_accvgpr_read_b32 v[vgprValuC+54], acc66 // copy acc to vreg[22]
v_accvgpr_read_b32 v[vgprValuC+55], acc67 // copy acc to vreg[23]
v_accvgpr_read_b32 v[vgprValuC+60], acc4 // copy acc to vreg[24]
v_accvgpr_read_b32 v[vgprValuC+61], acc5 // copy acc to vreg[25]
v_accvgpr_read_b32 v[vgprValuC+62], acc52 // copy acc to vreg[26]
v_accvgpr_read_b32 v[vgprValuC+63], acc53 // copy acc to vreg[27]
v_accvgpr_read_b32 v[vgprValuC+68], acc12 // copy acc to vreg[28]
v_accvgpr_read_b32 v[vgprValuC+69], acc13 // copy acc to vreg[29]
v_accvgpr_read_b32 v[vgprValuC+70], acc60 // copy acc to vreg[30]
v_accvgpr_read_b32 v[vgprValuC+71], acc61 // copy acc to vreg[31]
v_accvgpr_read_b32 v[vgprValuC+76], acc20 // copy acc to vreg[32]
v_accvgpr_read_b32 v[vgprValuC+77], acc21 // copy acc to vreg[33]
v_accvgpr_read_b32 v[vgprValuC+78], acc68 // copy acc to vreg[34]
v_accvgpr_read_b32 v[vgprValuC+79], acc69 // copy acc to vreg[35]
v_accvgpr_read_b32 v[vgprValuC+88], acc6 // copy acc to vreg[36]
v_accvgpr_read_b32 v[vgprValuC+89], acc7 // copy acc to vreg[37]
v_accvgpr_read_b32 v[vgprValuC+90], acc54 // copy acc to vreg[38]
v_accvgpr_read_b32 v[vgprValuC+91], acc55 // copy acc to vreg[39]
v_accvgpr_read_b32 v[vgprValuC+96], acc14 // copy acc to vreg[40]
v_accvgpr_read_b32 v[vgprValuC+97], acc15 // copy acc to vreg[41]
v_accvgpr_read_b32 v[vgprValuC+98], acc62 // copy acc to vreg[42]
v_accvgpr_read_b32 v[vgprValuC+99], acc63 // copy acc to vreg[43]
v_accvgpr_read_b32 v[vgprValuC+104], acc22 // copy acc to vreg[44]
v_accvgpr_read_b32 v[vgprValuC+105], acc23 // copy acc to vreg[45]
v_accvgpr_read_b32 v[vgprValuC+106], acc70 // copy acc to vreg[46]
v_accvgpr_read_b32 v[vgprValuC+107], acc71 // copy acc to vreg[47]
v_accvgpr_read_b32 v[vgprValuC+112], acc24 // copy acc to vreg[48]
v_accvgpr_read_b32 v[vgprValuC+113], acc25 // copy acc to vreg[49]
v_accvgpr_read_b32 v[vgprValuC+114], acc72 // copy acc to vreg[50]
v_accvgpr_read_b32 v[vgprValuC+115], acc73 // copy acc to vreg[51]
v_accvgpr_read_b32 v[vgprValuC+120], acc32 // copy acc to vreg[52]
v_accvgpr_read_b32 v[vgprValuC+121], acc33 // copy acc to vreg[53]
v_accvgpr_read_b32 v[vgprValuC+122], acc80 // copy acc to vreg[54]
v_accvgpr_read_b32 v[vgprValuC+123], acc81 // copy acc to vreg[55]
v_accvgpr_read_b32 v[vgprValuC+128], acc40 // copy acc to vreg[56]
v_accvgpr_read_b32 v[vgprValuC+129], acc41 // copy acc to vreg[57]
v_accvgpr_read_b32 v[vgprValuC+130], acc88 // copy acc to vreg[58]
v_accvgpr_read_b32 v[vgprValuC+131], acc89 // copy acc to vreg[59]
v_accvgpr_read_b32 v[vgprValuC+136], acc26 // copy acc to vreg[60]
v_accvgpr_read_b32 v[vgprValuC+137], acc27 // copy acc to vreg[61]
v_accvgpr_read_b32 v[vgprValuC+138], acc74 // copy acc to vreg[62]
v_accvgpr_read_b32 v[vgprValuC+139], acc75 // copy acc to vreg[63]
v_accvgpr_read_b32 v[vgprValuC+144], acc34 // copy acc to vreg[64]
v_accvgpr_read_b32 v[vgprValuC+145], acc35 // copy acc to vreg[65]
v_accvgpr_read_b32 v[vgprValuC+146], acc82 // copy acc to vreg[66]
v_accvgpr_read_b32 v[vgprValuC+147], acc83 // copy acc to vreg[67]
v_accvgpr_read_b32 v[vgprValuC+152], acc42 // copy acc to vreg[68]
v_accvgpr_read_b32 v[vgprValuC+153], acc43 // copy acc to vreg[69]
v_accvgpr_read_b32 v[vgprValuC+154], acc90 // copy acc to vreg[70]
v_accvgpr_read_b32 v[vgprValuC+155], acc91 // copy acc to vreg[71]
v_accvgpr_read_b32 v[vgprValuC+160], acc28 // copy acc to vreg[72]
v_accvgpr_read_b32 v[vgprValuC+161], acc29 // copy acc to vreg[73]
v_accvgpr_read_b32 v[vgprValuC+162], acc76 // copy acc to vreg[74]
v_accvgpr_read_b32 v[vgprValuC+163], acc77 // copy acc to vreg[75]
v_accvgpr_read_b32 v[vgprValuC+168], acc36 // copy acc to vreg[76]
v_accvgpr_read_b32 v[vgprValuC+169], acc37 // copy acc to vreg[77]
v_accvgpr_read_b32 v[vgprValuC+170], acc84 // copy acc to vreg[78]
v_accvgpr_read_b32 v[vgprValuC+171], acc85 // copy acc to vreg[79]
v_accvgpr_read_b32 v[vgprValuC+176], acc44 // copy acc to vreg[80]
v_accvgpr_read_b32 v[vgprValuC+177], acc45 // copy acc to vreg[81]
v_accvgpr_read_b32 v[vgprValuC+178], acc92 // copy acc to vreg[82]
v_accvgpr_read_b32 v[vgprValuC+179], acc93 // copy acc to vreg[83]
v_accvgpr_read_b32 v[vgprValuC+184], acc30 // copy acc to vreg[84]
v_accvgpr_read_b32 v[vgprValuC+185], acc31 // copy acc to vreg[85]
v_accvgpr_read_b32 v[vgprValuC+186], acc78 // copy acc to vreg[86]
v_accvgpr_read_b32 v[vgprValuC+187], acc79 // copy acc to vreg[87]
v_accvgpr_read_b32 v[vgprValuC+192], acc38 // copy acc to vreg[88]
v_accvgpr_read_b32 v[vgprValuC+193], acc39 // copy acc to vreg[89]
v_accvgpr_read_b32 v[vgprValuC+194], acc86 // copy acc to vreg[90]
v_accvgpr_read_b32 v[vgprValuC+195], acc87 // copy acc to vreg[91]
v_accvgpr_read_b32 v[vgprValuC+200], acc46 // copy acc to vreg[92]
v_accvgpr_read_b32 v[vgprValuC+201], acc47 // copy acc to vreg[93]
v_accvgpr_read_b32 v[vgprValuC+202], acc94 // copy acc to vreg[94]
v_accvgpr_read_b32 v[vgprValuC+203], acc95 // copy acc to vreg[95]
s_nop 1                                            // 2 wait states required before reading vgpr

/* rC *= alpha batchElements=[(0, 0, 0, 0), (0, 1, 0, 0), (0, 2, 0, 0), (1, 0, 0, 0), (1, 1, 0, 0), (1, 2, 0, 0), (2, 0, 0, 0), (2, 1, 0, 0), (2, 2, 0, 0), (3, 0, 0, 0), (3, 1, 0, 0), (3, 2, 0, 0), (4, 0, 0, 0), (4, 1, 0, 0), (4, 2, 0, 0), (5, 0, 0, 0), (5, 1, 0, 0), (5, 2, 0, 0), (6, 0, 0, 0), (6, 1, 0, 0), (6, 2, 0, 0), (7, 0, 0, 0), (7, 1, 0, 0), (7, 2, 0, 0)] */
v_mul_f64 v[204:205], s[sgprAlpha+0:sgprAlpha+0+1], v[vgprValuC+12:vgprValuC+12+1] // 
v_mul_f64 v[206:207], s[sgprAlpha+2:sgprAlpha+2+1], v[vgprValuC+12:vgprValuC+12+1] // 
v_fma_f64 v[vgprValuC+12:vgprValuC+12+1], s[sgprAlpha+2:sgprAlpha+2+1], -v[vgprValuC+14:vgprValuC+14+1], v[204:205]
v_fma_f64 v[vgprValuC+14:vgprValuC+14+1], s[sgprAlpha+0:sgprAlpha+0+1], v[vgprValuC+14:vgprValuC+14+1], v[206:207]
v_mul_f64 v[204:205], s[sgprAlpha+0:sgprAlpha+0+1], v[vgprValuC+20:vgprValuC+20+1] // 
v_mul_f64 v[206:207], s[sgprAlpha+2:sgprAlpha+2+1], v[vgprValuC+20:vgprValuC+20+1] // 
v_fma_f64 v[vgprValuC+20:vgprValuC+20+1], s[sgprAlpha+2:sgprAlpha+2+1], -v[vgprValuC+22:vgprValuC+22+1], v[204:205]
v_fma_f64 v[vgprValuC+22:vgprValuC+22+1], s[sgprAlpha+0:sgprAlpha+0+1], v[vgprValuC+22:vgprValuC+22+1], v[206:207]
	;; [unrolled: 4-line block ×24, first 2 shown]

/* apply mask, calc new C and issue writes */

s_waitcnt vmcnt(23)                                // wait C (interleaved) 23 = 24 - 0 + 0 - 1
v_fma_f64 v[vgprValuC+12:vgprValuC+12+1], v[8:9], s[sgprBeta+0:sgprBeta+0+1], v[vgprValuC+12:vgprValuC+12+1]
v_fma_f64 v[vgprValuC+12:vgprValuC+12+1], v[10:11], -s[sgprBeta+2:sgprBeta+2+1], v[vgprValuC+12:vgprValuC+12+1]
v_fma_f64 v[vgprValuC+14:vgprValuC+14+1], v[8:9], s[sgprBeta+2:sgprBeta+2+1], v[vgprValuC+14:vgprValuC+14+1]
v_fma_f64 v[vgprValuC+14:vgprValuC+14+1], v[10:11], s[sgprBeta+0:sgprBeta+0+1], v[vgprValuC+14:vgprValuC+14+1]
_buffer_store_b128 v[12:15], v6, s[sgprSrdD:sgprSrdD+3], 0, offen, offset:0,  glc slc // store D

s_waitcnt vmcnt(23)                                // wait C (interleaved) 23 = 24 - 1 + 1 - 1
v_fma_f64 v[vgprValuC+20:vgprValuC+20+1], v[16:17], s[sgprBeta+0:sgprBeta+0+1], v[vgprValuC+20:vgprValuC+20+1]
v_fma_f64 v[vgprValuC+20:vgprValuC+20+1], v[18:19], -s[sgprBeta+2:sgprBeta+2+1], v[vgprValuC+20:vgprValuC+20+1]
v_fma_f64 v[vgprValuC+22:vgprValuC+22+1], v[16:17], s[sgprBeta+2:sgprBeta+2+1], v[vgprValuC+22:vgprValuC+22+1]
v_fma_f64 v[vgprValuC+22:vgprValuC+22+1], v[18:19], s[sgprBeta+0:sgprBeta+0+1], v[vgprValuC+22:vgprValuC+22+1]
_buffer_store_b128 v[20:23], v6, s[sgprSrdD:sgprSrdD+3], 0, offen, offset:512,  glc slc // store D
	;; [unrolled: 7-line block ×3, first 2 shown]

s_waitcnt vmcnt(23)                                // wait C (interleaved) 23 = 24 - 3 + 3 - 1
v_fma_f64 v[vgprValuC+36:vgprValuC+36+1], v[32:33], s[sgprBeta+0:sgprBeta+0+1], v[vgprValuC+36:vgprValuC+36+1]
v_fma_f64 v[vgprValuC+36:vgprValuC+36+1], v[34:35], -s[sgprBeta+2:sgprBeta+2+1], v[vgprValuC+36:vgprValuC+36+1]
v_fma_f64 v[vgprValuC+38:vgprValuC+38+1], v[32:33], s[sgprBeta+2:sgprBeta+2+1], v[vgprValuC+38:vgprValuC+38+1]
v_fma_f64 v[vgprValuC+38:vgprValuC+38+1], v[34:35], s[sgprBeta+0:sgprBeta+0+1], v[vgprValuC+38:vgprValuC+38+1]
s_mul_i32 s58, s[sgprStrideD1J], 64                // scale StrideD *= numRows(4) * bpe
s_add_u32  s[sgprSrdD+0], s[sgprSrdD+0], s58       // incToNextRow: gra SRD += inc(lower)
s_addc_u32  s[sgprSrdD+1], s[sgprSrdD+1], 0        // incToNextRow: gra SRD += inc(upper)
_buffer_store_b128 v[36:39], v6, s[sgprSrdD:sgprSrdD+3], 0, offen, offset:0,  glc slc // store D

s_waitcnt vmcnt(23)                                // wait C (interleaved) 23 = 24 - 4 + 4 - 1
v_fma_f64 v[vgprValuC+44:vgprValuC+44+1], v[40:41], s[sgprBeta+0:sgprBeta+0+1], v[vgprValuC+44:vgprValuC+44+1]
v_fma_f64 v[vgprValuC+44:vgprValuC+44+1], v[42:43], -s[sgprBeta+2:sgprBeta+2+1], v[vgprValuC+44:vgprValuC+44+1]
v_fma_f64 v[vgprValuC+46:vgprValuC+46+1], v[40:41], s[sgprBeta+2:sgprBeta+2+1], v[vgprValuC+46:vgprValuC+46+1]
v_fma_f64 v[vgprValuC+46:vgprValuC+46+1], v[42:43], s[sgprBeta+0:sgprBeta+0+1], v[vgprValuC+46:vgprValuC+46+1]
_buffer_store_b128 v[44:47], v6, s[sgprSrdD:sgprSrdD+3], 0, offen, offset:512,  glc slc // store D

s_waitcnt vmcnt(23)                                // wait C (interleaved) 23 = 24 - 5 + 5 - 1
v_fma_f64 v[vgprValuC+52:vgprValuC+52+1], v[48:49], s[sgprBeta+0:sgprBeta+0+1], v[vgprValuC+52:vgprValuC+52+1]
v_fma_f64 v[vgprValuC+52:vgprValuC+52+1], v[50:51], -s[sgprBeta+2:sgprBeta+2+1], v[vgprValuC+52:vgprValuC+52+1]
v_fma_f64 v[vgprValuC+54:vgprValuC+54+1], v[48:49], s[sgprBeta+2:sgprBeta+2+1], v[vgprValuC+54:vgprValuC+54+1]
v_fma_f64 v[vgprValuC+54:vgprValuC+54+1], v[50:51], s[sgprBeta+0:sgprBeta+0+1], v[vgprValuC+54:vgprValuC+54+1]
_buffer_store_b128 v[52:55], v6, s[sgprSrdD:sgprSrdD+3], 0, offen, offset:1024,  glc slc // store D

s_waitcnt vmcnt(23)                                // wait C (interleaved) 23 = 24 - 6 + 6 - 1
v_fma_f64 v[vgprValuC+60:vgprValuC+60+1], v[56:57], s[sgprBeta+0:sgprBeta+0+1], v[vgprValuC+60:vgprValuC+60+1]
v_fma_f64 v[vgprValuC+60:vgprValuC+60+1], v[58:59], -s[sgprBeta+2:sgprBeta+2+1], v[vgprValuC+60:vgprValuC+60+1]
v_fma_f64 v[vgprValuC+62:vgprValuC+62+1], v[56:57], s[sgprBeta+2:sgprBeta+2+1], v[vgprValuC+62:vgprValuC+62+1]
v_fma_f64 v[vgprValuC+62:vgprValuC+62+1], v[58:59], s[sgprBeta+0:sgprBeta+0+1], v[vgprValuC+62:vgprValuC+62+1]
s_mul_i32 s58, s[sgprStrideD1J], 64                // scale StrideD *= numRows(4) * bpe
s_add_u32  s[sgprSrdD+0], s[sgprSrdD+0], s58       // incToNextRow: gra SRD += inc(lower)
s_addc_u32  s[sgprSrdD+1], s[sgprSrdD+1], 0        // incToNextRow: gra SRD += inc(upper)
_buffer_store_b128 v[60:63], v6, s[sgprSrdD:sgprSrdD+3], 0, offen, offset:0,  glc slc // store D

s_waitcnt vmcnt(23)                                // wait C (interleaved) 23 = 24 - 7 + 7 - 1
v_fma_f64 v[vgprValuC+68:vgprValuC+68+1], v[64:65], s[sgprBeta+0:sgprBeta+0+1], v[vgprValuC+68:vgprValuC+68+1]
v_fma_f64 v[vgprValuC+68:vgprValuC+68+1], v[66:67], -s[sgprBeta+2:sgprBeta+2+1], v[vgprValuC+68:vgprValuC+68+1]
v_fma_f64 v[vgprValuC+70:vgprValuC+70+1], v[64:65], s[sgprBeta+2:sgprBeta+2+1], v[vgprValuC+70:vgprValuC+70+1]
v_fma_f64 v[vgprValuC+70:vgprValuC+70+1], v[66:67], s[sgprBeta+0:sgprBeta+0+1], v[vgprValuC+70:vgprValuC+70+1]
_buffer_store_b128 v[68:71], v6, s[sgprSrdD:sgprSrdD+3], 0, offen, offset:512,  glc slc // store D

s_waitcnt vmcnt(23)                                // wait C (interleaved) 23 = 24 - 8 + 8 - 1
v_fma_f64 v[vgprValuC+76:vgprValuC+76+1], v[72:73], s[sgprBeta+0:sgprBeta+0+1], v[vgprValuC+76:vgprValuC+76+1]
v_fma_f64 v[vgprValuC+76:vgprValuC+76+1], v[74:75], -s[sgprBeta+2:sgprBeta+2+1], v[vgprValuC+76:vgprValuC+76+1]
v_fma_f64 v[vgprValuC+78:vgprValuC+78+1], v[72:73], s[sgprBeta+2:sgprBeta+2+1], v[vgprValuC+78:vgprValuC+78+1]
v_fma_f64 v[vgprValuC+78:vgprValuC+78+1], v[74:75], s[sgprBeta+0:sgprBeta+0+1], v[vgprValuC+78:vgprValuC+78+1]
_buffer_store_b128 v[76:79], v6, s[sgprSrdD:sgprSrdD+3], 0, offen, offset:1024,  glc slc // store D
	;; [unrolled: 24-line block ×3, first 2 shown]

s_waitcnt vmcnt(23)                                // wait C (interleaved) 23 = 24 - 12 + 12 - 1
v_fma_f64 v[vgprValuC+112:vgprValuC+112+1], v[108:109], s[sgprBeta+0:sgprBeta+0+1], v[vgprValuC+112:vgprValuC+112+1]
v_fma_f64 v[vgprValuC+112:vgprValuC+112+1], v[110:111], -s[sgprBeta+2:sgprBeta+2+1], v[vgprValuC+112:vgprValuC+112+1]
v_fma_f64 v[vgprValuC+114:vgprValuC+114+1], v[108:109], s[sgprBeta+2:sgprBeta+2+1], v[vgprValuC+114:vgprValuC+114+1]
v_fma_f64 v[vgprValuC+114:vgprValuC+114+1], v[110:111], s[sgprBeta+0:sgprBeta+0+1], v[vgprValuC+114:vgprValuC+114+1]
s_mul_i32 s58, s[sgprStrideD1J], 320               // scale StrideD *= numRows(20) * bpe
s_add_u32  s[sgprSrdD+0], s[sgprSrdD+0], s58       // incToNextRow: gra SRD += inc(lower)
s_addc_u32  s[sgprSrdD+1], s[sgprSrdD+1], 0        // incToNextRow: gra SRD += inc(upper)
_buffer_store_b128 v[112:115], v6, s[sgprSrdD:sgprSrdD+3], 0, offen, offset:0,  glc slc // store D

s_waitcnt vmcnt(23)                                // wait C (interleaved) 23 = 24 - 13 + 13 - 1
v_fma_f64 v[vgprValuC+120:vgprValuC+120+1], v[116:117], s[sgprBeta+0:sgprBeta+0+1], v[vgprValuC+120:vgprValuC+120+1]
v_fma_f64 v[vgprValuC+120:vgprValuC+120+1], v[118:119], -s[sgprBeta+2:sgprBeta+2+1], v[vgprValuC+120:vgprValuC+120+1]
v_fma_f64 v[vgprValuC+122:vgprValuC+122+1], v[116:117], s[sgprBeta+2:sgprBeta+2+1], v[vgprValuC+122:vgprValuC+122+1]
v_fma_f64 v[vgprValuC+122:vgprValuC+122+1], v[118:119], s[sgprBeta+0:sgprBeta+0+1], v[vgprValuC+122:vgprValuC+122+1]
_buffer_store_b128 v[120:123], v6, s[sgprSrdD:sgprSrdD+3], 0, offen, offset:512,  glc slc // store D

s_waitcnt vmcnt(23)                                // wait C (interleaved) 23 = 24 - 14 + 14 - 1
v_fma_f64 v[vgprValuC+128:vgprValuC+128+1], v[124:125], s[sgprBeta+0:sgprBeta+0+1], v[vgprValuC+128:vgprValuC+128+1]
v_fma_f64 v[vgprValuC+128:vgprValuC+128+1], v[126:127], -s[sgprBeta+2:sgprBeta+2+1], v[vgprValuC+128:vgprValuC+128+1]
v_fma_f64 v[vgprValuC+130:vgprValuC+130+1], v[124:125], s[sgprBeta+2:sgprBeta+2+1], v[vgprValuC+130:vgprValuC+130+1]
v_fma_f64 v[vgprValuC+130:vgprValuC+130+1], v[126:127], s[sgprBeta+0:sgprBeta+0+1], v[vgprValuC+130:vgprValuC+130+1]
_buffer_store_b128 v[128:131], v6, s[sgprSrdD:sgprSrdD+3], 0, offen, offset:1024,  glc slc // store D

s_waitcnt vmcnt(23)                                // wait C (interleaved) 23 = 24 - 15 + 15 - 1
v_fma_f64 v[vgprValuC+136:vgprValuC+136+1], v[132:133], s[sgprBeta+0:sgprBeta+0+1], v[vgprValuC+136:vgprValuC+136+1]
v_fma_f64 v[vgprValuC+136:vgprValuC+136+1], v[134:135], -s[sgprBeta+2:sgprBeta+2+1], v[vgprValuC+136:vgprValuC+136+1]
v_fma_f64 v[vgprValuC+138:vgprValuC+138+1], v[132:133], s[sgprBeta+2:sgprBeta+2+1], v[vgprValuC+138:vgprValuC+138+1]
v_fma_f64 v[vgprValuC+138:vgprValuC+138+1], v[134:135], s[sgprBeta+0:sgprBeta+0+1], v[vgprValuC+138:vgprValuC+138+1]
s_mul_i32 s58, s[sgprStrideD1J], 64                // scale StrideD *= numRows(4) * bpe
s_add_u32  s[sgprSrdD+0], s[sgprSrdD+0], s58       // incToNextRow: gra SRD += inc(lower)
s_addc_u32  s[sgprSrdD+1], s[sgprSrdD+1], 0        // incToNextRow: gra SRD += inc(upper)
_buffer_store_b128 v[136:139], v6, s[sgprSrdD:sgprSrdD+3], 0, offen, offset:0,  glc slc // store D

s_waitcnt vmcnt(23)                                // wait C (interleaved) 23 = 24 - 16 + 16 - 1
v_fma_f64 v[vgprValuC+144:vgprValuC+144+1], v[140:141], s[sgprBeta+0:sgprBeta+0+1], v[vgprValuC+144:vgprValuC+144+1]
v_fma_f64 v[vgprValuC+144:vgprValuC+144+1], v[142:143], -s[sgprBeta+2:sgprBeta+2+1], v[vgprValuC+144:vgprValuC+144+1]
v_fma_f64 v[vgprValuC+146:vgprValuC+146+1], v[140:141], s[sgprBeta+2:sgprBeta+2+1], v[vgprValuC+146:vgprValuC+146+1]
v_fma_f64 v[vgprValuC+146:vgprValuC+146+1], v[142:143], s[sgprBeta+0:sgprBeta+0+1], v[vgprValuC+146:vgprValuC+146+1]
_buffer_store_b128 v[144:147], v6, s[sgprSrdD:sgprSrdD+3], 0, offen, offset:512,  glc slc // store D

s_waitcnt vmcnt(23)                                // wait C (interleaved) 23 = 24 - 17 + 17 - 1
v_fma_f64 v[vgprValuC+152:vgprValuC+152+1], v[148:149], s[sgprBeta+0:sgprBeta+0+1], v[vgprValuC+152:vgprValuC+152+1]
v_fma_f64 v[vgprValuC+152:vgprValuC+152+1], v[150:151], -s[sgprBeta+2:sgprBeta+2+1], v[vgprValuC+152:vgprValuC+152+1]
v_fma_f64 v[vgprValuC+154:vgprValuC+154+1], v[148:149], s[sgprBeta+2:sgprBeta+2+1], v[vgprValuC+154:vgprValuC+154+1]
v_fma_f64 v[vgprValuC+154:vgprValuC+154+1], v[150:151], s[sgprBeta+0:sgprBeta+0+1], v[vgprValuC+154:vgprValuC+154+1]
_buffer_store_b128 v[152:155], v6, s[sgprSrdD:sgprSrdD+3], 0, offen, offset:1024,  glc slc // store D

s_waitcnt vmcnt(23)                                // wait C (interleaved) 23 = 24 - 18 + 18 - 1
v_fma_f64 v[vgprValuC+160:vgprValuC+160+1], v[156:157], s[sgprBeta+0:sgprBeta+0+1], v[vgprValuC+160:vgprValuC+160+1]
v_fma_f64 v[vgprValuC+160:vgprValuC+160+1], v[158:159], -s[sgprBeta+2:sgprBeta+2+1], v[vgprValuC+160:vgprValuC+160+1]
v_fma_f64 v[vgprValuC+162:vgprValuC+162+1], v[156:157], s[sgprBeta+2:sgprBeta+2+1], v[vgprValuC+162:vgprValuC+162+1]
v_fma_f64 v[vgprValuC+162:vgprValuC+162+1], v[158:159], s[sgprBeta+0:sgprBeta+0+1], v[vgprValuC+162:vgprValuC+162+1]
s_mul_i32 s58, s[sgprStrideD1J], 64                // scale StrideD *= numRows(4) * bpe
	;; [unrolled: 24-line block ×3, first 2 shown]
s_add_u32  s[sgprSrdD+0], s[sgprSrdD+0], s58       // incToNextRow: gra SRD += inc(lower)
s_addc_u32  s[sgprSrdD+1], s[sgprSrdD+1], 0        // incToNextRow: gra SRD += inc(upper)
_buffer_store_b128 v[184:187], v6, s[sgprSrdD:sgprSrdD+3], 0, offen, offset:0,  glc slc // store D

s_waitcnt vmcnt(23)                                // wait C (interleaved) 23 = 24 - 22 + 22 - 1
v_fma_f64 v[vgprValuC+192:vgprValuC+192+1], v[188:189], s[sgprBeta+0:sgprBeta+0+1], v[vgprValuC+192:vgprValuC+192+1]
v_fma_f64 v[vgprValuC+192:vgprValuC+192+1], v[190:191], -s[sgprBeta+2:sgprBeta+2+1], v[vgprValuC+192:vgprValuC+192+1]
v_fma_f64 v[vgprValuC+194:vgprValuC+194+1], v[188:189], s[sgprBeta+2:sgprBeta+2+1], v[vgprValuC+194:vgprValuC+194+1]
v_fma_f64 v[vgprValuC+194:vgprValuC+194+1], v[190:191], s[sgprBeta+0:sgprBeta+0+1], v[vgprValuC+194:vgprValuC+194+1]
_buffer_store_b128 v[192:195], v6, s[sgprSrdD:sgprSrdD+3], 0, offen, offset:512,  glc slc // store D

s_waitcnt vmcnt(23)                                // wait C (interleaved) 23 = 24 - 23 + 23 - 1
v_fma_f64 v[vgprValuC+200:vgprValuC+200+1], v[196:197], s[sgprBeta+0:sgprBeta+0+1], v[vgprValuC+200:vgprValuC+200+1]
v_fma_f64 v[vgprValuC+200:vgprValuC+200+1], v[198:199], -s[sgprBeta+2:sgprBeta+2+1], v[vgprValuC+200:vgprValuC+200+1]
v_fma_f64 v[vgprValuC+202:vgprValuC+202+1], v[196:197], s[sgprBeta+2:sgprBeta+2+1], v[vgprValuC+202:vgprValuC+202+1]
v_fma_f64 v[vgprValuC+202:vgprValuC+202+1], v[198:199], s[sgprBeta+0:sgprBeta+0+1], v[vgprValuC+202:vgprValuC+202+1]
_buffer_store_b128 v[200:203], v6, s[sgprSrdD:sgprSrdD+3], 0, offen, offset:1024,  glc slc // store D
s_nop 0                                            // 1 wait state required when next inst writes vgprs held by previous dwordx4 store inst
s_branch label_GW_End_48                           // jump to end
GW_B1_E1_47:

/* edge=1, allocate 6 sgpr. perBatchTmpS=4 perBatchMaskS=2 perElementMaskS=0 elementsPerBatch=26 */
/* optSingleColVgpr=0 optSharedColVgpr=0 optSGPRUsage=BufferLoad_Edge_Mask optSrdIncForRow=0 */
s_sleep 3 // optimization: sync and wait
s_barrier

/******************************************/
/* Global Write Alpha Beta Edge Batch #0 (d1,d0,vc1,vc0) = */
/*    (0,0,0,0:vw1); (0,1,0,0:vw1); (0,2,0,0:vw1); (1,0,0,0:vw1); (1,1,0,0:vw1); (1,2,0,0:vw1); (2,0,0,0:vw1); (2,1,0,0:vw1); (2,2,0,0:vw1); (3,0,0,0:vw1); (3,1,0,0:vw1); (3,2,0,0:vw1); (4,0,0,0:vw1); (4,1,0,0:vw1); (4,2,0,0:vw1); (5,0,0,0:vw1); (5,1,0,0:vw1); (5,2,0,0:vw1); (6,0,0,0:vw1); (6,1,0,0:vw1); (6,2,0,0:vw1); (7,0,0,0:vw1); (7,1,0,0:vw1); (7,2,0,0:vw1) */
/******************************************/

/* calc coords, apply mask, and issue loads (if necessary) */
/* (d1,vc1,d0,vc0)=(0,0,0,0) */
v_cmp_lt_u32 s[58:59], v0, s[sgprSizeI]            // coord0 < size0
v_cmp_lt_u32 s[62:63], v1, s[sgprSizeJ]            // coord1 < size1
s_and_b64 s[62:63], s[58:59], s[62:63]             // in0 && in1
_v_add_lshl_u32 v6, v2, v0, 0x4                    // scaleToBpe: accumulate d0 lower and *= bpe into Cin addr
v_cndmask_b32 v6, -1, v6, s[62:63]                 // LDC clip if OOB. offset
_buffer_load_b128 v[8:11], v6, s[sgprSrdC:sgprSrdC+3], 0, offen offset:0,  glc slc // load C for beta calc
_v_add_lshl_u32 v6, v3, v0, 0x4                    // scaleToBpe: accumulate d0 lower and *= bpe into Cin addr
v_cndmask_b32 v6, -1, v6, s[62:63]                 // LDD clip if OOB. offset
/* (d1,vc1,d0,vc0)=(0,0,1,0) */
_v_add_co_u32 v4, vcc, v0, 32                      // coord0.1: coord0 += d0*sg0*VW + vc0
v_cmp_lt_u32 s[58:59], v4, s[sgprSizeI]            // coord0 < size0
v_cmp_lt_u32 s[62:63], v1, s[sgprSizeJ]            // coord1 < size1
s_and_b64 s[62:63], s[58:59], s[62:63]             // in0 && in1
_v_add_lshl_u32 v7, v2, v4, 0x4                    // scaleToBpe: accumulate d0 lower and *= bpe into Cin addr
v_cndmask_b32 v7, -1, v7, s[62:63]                 // LDC clip if OOB. offset
_buffer_load_b128 v[16:19], v7, s[sgprSrdC:sgprSrdC+3], 0, offen offset:0,  glc slc // load C for beta calc
_v_add_lshl_u32 v7, v3, v4, 0x4                    // scaleToBpe: accumulate d0 lower and *= bpe into Cin addr
v_cndmask_b32 v7, -1, v7, s[62:63]                 // LDD clip if OOB. offset
/* (d1,vc1,d0,vc0)=(0,0,2,0) */
_v_add_co_u32 v4, vcc, v0, 64                      // coord0.1: coord0 += d0*sg0*VW + vc0
v_cmp_lt_u32 s[58:59], v4, s[sgprSizeI]            // coord0 < size0
v_cmp_lt_u32 s[62:63], v1, s[sgprSizeJ]            // coord1 < size1
s_and_b64 s[62:63], s[58:59], s[62:63]             // in0 && in1
_v_add_lshl_u32 v24, v2, v4, 0x4                   // scaleToBpe: accumulate d0 lower and *= bpe into Cin addr
v_cndmask_b32 v24, -1, v24, s[62:63]               // LDC clip if OOB. offset
_buffer_load_b128 v[28:31], v24, s[sgprSrdC:sgprSrdC+3], 0, offen offset:0,  glc slc // load C for beta calc
_v_add_lshl_u32 v24, v3, v4, 0x4                   // scaleToBpe: accumulate d0 lower and *= bpe into Cin addr
v_cndmask_b32 v24, -1, v24, s[62:63]               // LDD clip if OOB. offset
/* (d1,vc1,d0,vc0)=(1,0,0,0) */
_v_add_co_u32 v1, vcc, v1, 4                       // coord1.1: coord1Vgpr += d1*sg1*VW + vc1

/* Fix for UseInitialStridesCD, emitAddressSetupCode */
s_mul_i32 s58, s[sgprStrideC1J], 4                 // scale stride
_v_add_u32 v2, v2, s58                             // ROWINC- Move cinRowPtr to next row
s_mul_i32 s58, s[sgprStrideD1J], 4                 // scale stride
_v_add_u32 v3, v3, s58                             // Move coutRowPtr to next row
v_cmp_lt_u32 s[58:59], v0, s[sgprSizeI]            // coord0 < size0
v_cmp_lt_u32 s[62:63], v1, s[sgprSizeJ]            // coord1 < size1
s_and_b64 s[62:63], s[58:59], s[62:63]             // in0 && in1
_v_add_lshl_u32 v25, v2, v0, 0x4                   // scaleToBpe: accumulate d0 lower and *= bpe into Cin addr
v_cndmask_b32 v25, -1, v25, s[62:63]               // LDC clip if OOB. offset
_buffer_load_b128 v[36:39], v25, s[sgprSrdC:sgprSrdC+3], 0, offen offset:0,  glc slc // load C for beta calc
_v_add_lshl_u32 v25, v3, v0, 0x4                   // scaleToBpe: accumulate d0 lower and *= bpe into Cin addr
v_cndmask_b32 v25, -1, v25, s[62:63]               // LDD clip if OOB. offset
/* (d1,vc1,d0,vc0)=(1,0,1,0) */
_v_add_co_u32 v4, vcc, v0, 32                      // coord0.1: coord0 += d0*sg0*VW + vc0
v_cmp_lt_u32 s[58:59], v4, s[sgprSizeI]            // coord0 < size0
v_cmp_lt_u32 s[62:63], v1, s[sgprSizeJ]            // coord1 < size1
s_and_b64 s[62:63], s[58:59], s[62:63]             // in0 && in1
_v_add_lshl_u32 v26, v2, v4, 0x4                   // scaleToBpe: accumulate d0 lower and *= bpe into Cin addr
v_cndmask_b32 v26, -1, v26, s[62:63]               // LDC clip if OOB. offset
_buffer_load_b128 v[44:47], v26, s[sgprSrdC:sgprSrdC+3], 0, offen offset:0,  glc slc // load C for beta calc
_v_add_lshl_u32 v26, v3, v4, 0x4                   // scaleToBpe: accumulate d0 lower and *= bpe into Cin addr
v_cndmask_b32 v26, -1, v26, s[62:63]               // LDD clip if OOB. offset
/* (d1,vc1,d0,vc0)=(1,0,2,0) */
_v_add_co_u32 v4, vcc, v0, 64                      // coord0.1: coord0 += d0*sg0*VW + vc0
v_cmp_lt_u32 s[58:59], v4, s[sgprSizeI]            // coord0 < size0
v_cmp_lt_u32 s[62:63], v1, s[sgprSizeJ]            // coord1 < size1
s_and_b64 s[62:63], s[58:59], s[62:63]             // in0 && in1
_v_add_lshl_u32 v27, v2, v4, 0x4                   // scaleToBpe: accumulate d0 lower and *= bpe into Cin addr
v_cndmask_b32 v27, -1, v27, s[62:63]               // LDC clip if OOB. offset
_buffer_load_b128 v[52:55], v27, s[sgprSrdC:sgprSrdC+3], 0, offen offset:0,  glc slc // load C for beta calc
_v_add_lshl_u32 v27, v3, v4, 0x4                   // scaleToBpe: accumulate d0 lower and *= bpe into Cin addr
v_cndmask_b32 v27, -1, v27, s[62:63]               // LDD clip if OOB. offset
/* (d1,vc1,d0,vc0)=(2,0,0,0) */
_v_add_co_u32 v1, vcc, v1, 4                       // coord1.1: coord1Vgpr += d1*sg1*VW + vc1

/* Fix for UseInitialStridesCD, emitAddressSetupCode */
s_mul_i32 s58, s[sgprStrideC1J], 4                 // scale stride
_v_add_u32 v2, v2, s58                             // ROWINC- Move cinRowPtr to next row
s_mul_i32 s58, s[sgprStrideD1J], 4                 // scale stride
_v_add_u32 v3, v3, s58                             // Move coutRowPtr to next row
v_cmp_lt_u32 s[58:59], v0, s[sgprSizeI]            // coord0 < size0
v_cmp_lt_u32 s[62:63], v1, s[sgprSizeJ]            // coord1 < size1
s_and_b64 s[62:63], s[58:59], s[62:63]             // in0 && in1
_v_add_lshl_u32 v60, v2, v0, 0x4                   // scaleToBpe: accumulate d0 lower and *= bpe into Cin addr
v_cndmask_b32 v60, -1, v60, s[62:63]               // LDC clip if OOB. offset
_buffer_load_b128 v[64:67], v60, s[sgprSrdC:sgprSrdC+3], 0, offen offset:0,  glc slc // load C for beta calc
_v_add_lshl_u32 v60, v3, v0, 0x4                   // scaleToBpe: accumulate d0 lower and *= bpe into Cin addr
v_cndmask_b32 v60, -1, v60, s[62:63]               // LDD clip if OOB. offset
/* (d1,vc1,d0,vc0)=(2,0,1,0) */
_v_add_co_u32 v4, vcc, v0, 32                      // coord0.1: coord0 += d0*sg0*VW + vc0
v_cmp_lt_u32 s[58:59], v4, s[sgprSizeI]            // coord0 < size0
v_cmp_lt_u32 s[62:63], v1, s[sgprSizeJ]            // coord1 < size1
s_and_b64 s[62:63], s[58:59], s[62:63]             // in0 && in1
_v_add_lshl_u32 v61, v2, v4, 0x4                   // scaleToBpe: accumulate d0 lower and *= bpe into Cin addr
v_cndmask_b32 v61, -1, v61, s[62:63]               // LDC clip if OOB. offset
_buffer_load_b128 v[72:75], v61, s[sgprSrdC:sgprSrdC+3], 0, offen offset:0,  glc slc // load C for beta calc
_v_add_lshl_u32 v61, v3, v4, 0x4                   // scaleToBpe: accumulate d0 lower and *= bpe into Cin addr
v_cndmask_b32 v61, -1, v61, s[62:63]               // LDD clip if OOB. offset
	;; [unrolled: 36-line block ×3, first 2 shown]
/* (d1,vc1,d0,vc0)=(3,0,2,0) */
_v_add_co_u32 v4, vcc, v0, 64                      // coord0.1: coord0 += d0*sg0*VW + vc0
v_cmp_lt_u32 s[58:59], v4, s[sgprSizeI]            // coord0 < size0
v_cmp_lt_u32 s[62:63], v1, s[sgprSizeJ]            // coord1 < size1
s_and_b64 s[62:63], s[58:59], s[62:63]             // in0 && in1
_v_add_lshl_u32 v108, v2, v4, 0x4                  // scaleToBpe: accumulate d0 lower and *= bpe into Cin addr
v_cndmask_b32 v108, -1, v108, s[62:63]             // LDC clip if OOB. offset
_buffer_load_b128 v[112:115], v108, s[sgprSrdC:sgprSrdC+3], 0, offen offset:0,  glc slc // load C for beta calc
_v_add_lshl_u32 v108, v3, v4, 0x4                  // scaleToBpe: accumulate d0 lower and *= bpe into Cin addr
v_cndmask_b32 v108, -1, v108, s[62:63]             // LDD clip if OOB. offset
/* (d1,vc1,d0,vc0)=(4,0,0,0) */
_v_add_co_u32 v1, vcc, v1, 20                      // coord1.1: coord1Vgpr += d1*sg1*VW + vc1

/* Fix for UseInitialStridesCD, emitAddressSetupCode */
s_mul_i32 s58, s[sgprStrideC1J], 20                // scale stride
_v_add_u32 v2, v2, s58                             // ROWINC- Move cinRowPtr to next row
s_mul_i32 s58, s[sgprStrideD1J], 20                // scale stride
_v_add_u32 v3, v3, s58                             // Move coutRowPtr to next row
v_cmp_lt_u32 s[58:59], v0, s[sgprSizeI]            // coord0 < size0
v_cmp_lt_u32 s[62:63], v1, s[sgprSizeJ]            // coord1 < size1
s_and_b64 s[62:63], s[58:59], s[62:63]             // in0 && in1
_v_add_lshl_u32 v109, v2, v0, 0x4                  // scaleToBpe: accumulate d0 lower and *= bpe into Cin addr
v_cndmask_b32 v109, -1, v109, s[62:63]             // LDC clip if OOB. offset
_buffer_load_b128 v[120:123], v109, s[sgprSrdC:sgprSrdC+3], 0, offen offset:0,  glc slc // load C for beta calc
_v_add_lshl_u32 v109, v3, v0, 0x4                  // scaleToBpe: accumulate d0 lower and *= bpe into Cin addr
v_cndmask_b32 v109, -1, v109, s[62:63]             // LDD clip if OOB. offset
/* (d1,vc1,d0,vc0)=(4,0,1,0) */
_v_add_co_u32 v4, vcc, v0, 32                      // coord0.1: coord0 += d0*sg0*VW + vc0
v_cmp_lt_u32 s[58:59], v4, s[sgprSizeI]            // coord0 < size0
v_cmp_lt_u32 s[62:63], v1, s[sgprSizeJ]            // coord1 < size1
s_and_b64 s[62:63], s[58:59], s[62:63]             // in0 && in1
_v_add_lshl_u32 v110, v2, v4, 0x4                  // scaleToBpe: accumulate d0 lower and *= bpe into Cin addr
v_cndmask_b32 v110, -1, v110, s[62:63]             // LDC clip if OOB. offset
_buffer_load_b128 v[128:131], v110, s[sgprSrdC:sgprSrdC+3], 0, offen offset:0,  glc slc // load C for beta calc
_v_add_lshl_u32 v110, v3, v4, 0x4                  // scaleToBpe: accumulate d0 lower and *= bpe into Cin addr
v_cndmask_b32 v110, -1, v110, s[62:63]             // LDD clip if OOB. offset
/* (d1,vc1,d0,vc0)=(4,0,2,0) */
_v_add_co_u32 v4, vcc, v0, 64                      // coord0.1: coord0 += d0*sg0*VW + vc0
v_cmp_lt_u32 s[58:59], v4, s[sgprSizeI]            // coord0 < size0
v_cmp_lt_u32 s[62:63], v1, s[sgprSizeJ]            // coord1 < size1
s_and_b64 s[62:63], s[58:59], s[62:63]             // in0 && in1
_v_add_lshl_u32 v111, v2, v4, 0x4                  // scaleToBpe: accumulate d0 lower and *= bpe into Cin addr
v_cndmask_b32 v111, -1, v111, s[62:63]             // LDC clip if OOB. offset
_buffer_load_b128 v[136:139], v111, s[sgprSrdC:sgprSrdC+3], 0, offen offset:0,  glc slc // load C for beta calc
_v_add_lshl_u32 v111, v3, v4, 0x4                  // scaleToBpe: accumulate d0 lower and *= bpe into Cin addr
v_cndmask_b32 v111, -1, v111, s[62:63]             // LDD clip if OOB. offset
/* (d1,vc1,d0,vc0)=(5,0,0,0) */
_v_add_co_u32 v1, vcc, v1, 4                       // coord1.1: coord1Vgpr += d1*sg1*VW + vc1

/* Fix for UseInitialStridesCD, emitAddressSetupCode */
s_mul_i32 s58, s[sgprStrideC1J], 4                 // scale stride
_v_add_u32 v2, v2, s58                             // ROWINC- Move cinRowPtr to next row
s_mul_i32 s58, s[sgprStrideD1J], 4                 // scale stride
_v_add_u32 v3, v3, s58                             // Move coutRowPtr to next row
v_cmp_lt_u32 s[58:59], v0, s[sgprSizeI]            // coord0 < size0
v_cmp_lt_u32 s[62:63], v1, s[sgprSizeJ]            // coord1 < size1
s_and_b64 s[62:63], s[58:59], s[62:63]             // in0 && in1
_v_add_lshl_u32 v144, v2, v0, 0x4                  // scaleToBpe: accumulate d0 lower and *= bpe into Cin addr
v_cndmask_b32 v144, -1, v144, s[62:63]             // LDC clip if OOB. offset
_buffer_load_b128 v[148:151], v144, s[sgprSrdC:sgprSrdC+3], 0, offen offset:0,  glc slc // load C for beta calc
_v_add_lshl_u32 v144, v3, v0, 0x4                  // scaleToBpe: accumulate d0 lower and *= bpe into Cin addr
v_cndmask_b32 v144, -1, v144, s[62:63]             // LDD clip if OOB. offset
/* (d1,vc1,d0,vc0)=(5,0,1,0) */
_v_add_co_u32 v4, vcc, v0, 32                      // coord0.1: coord0 += d0*sg0*VW + vc0
v_cmp_lt_u32 s[58:59], v4, s[sgprSizeI]            // coord0 < size0
v_cmp_lt_u32 s[62:63], v1, s[sgprSizeJ]            // coord1 < size1
s_and_b64 s[62:63], s[58:59], s[62:63]             // in0 && in1
_v_add_lshl_u32 v145, v2, v4, 0x4                  // scaleToBpe: accumulate d0 lower and *= bpe into Cin addr
v_cndmask_b32 v145, -1, v145, s[62:63]             // LDC clip if OOB. offset
_buffer_load_b128 v[156:159], v145, s[sgprSrdC:sgprSrdC+3], 0, offen offset:0,  glc slc // load C for beta calc
_v_add_lshl_u32 v145, v3, v4, 0x4                  // scaleToBpe: accumulate d0 lower and *= bpe into Cin addr
v_cndmask_b32 v145, -1, v145, s[62:63]             // LDD clip if OOB. offset
/* (d1,vc1,d0,vc0)=(5,0,2,0) */
_v_add_co_u32 v4, vcc, v0, 64                      // coord0.1: coord0 += d0*sg0*VW + vc0
v_cmp_lt_u32 s[58:59], v4, s[sgprSizeI]            // coord0 < size0
v_cmp_lt_u32 s[62:63], v1, s[sgprSizeJ]            // coord1 < size1
s_and_b64 s[62:63], s[58:59], s[62:63]             // in0 && in1
_v_add_lshl_u32 v146, v2, v4, 0x4                  // scaleToBpe: accumulate d0 lower and *= bpe into Cin addr
v_cndmask_b32 v146, -1, v146, s[62:63]             // LDC clip if OOB. offset
_buffer_load_b128 v[164:167], v146, s[sgprSrdC:sgprSrdC+3], 0, offen offset:0,  glc slc // load C for beta calc
_v_add_lshl_u32 v146, v3, v4, 0x4                  // scaleToBpe: accumulate d0 lower and *= bpe into Cin addr
v_cndmask_b32 v146, -1, v146, s[62:63]             // LDD clip if OOB. offset
/* (d1,vc1,d0,vc0)=(6,0,0,0) */
_v_add_co_u32 v1, vcc, v1, 4                       // coord1.1: coord1Vgpr += d1*sg1*VW + vc1

/* Fix for UseInitialStridesCD, emitAddressSetupCode */
s_mul_i32 s58, s[sgprStrideC1J], 4                 // scale stride
_v_add_u32 v2, v2, s58                             // ROWINC- Move cinRowPtr to next row
s_mul_i32 s58, s[sgprStrideD1J], 4                 // scale stride
	;; [unrolled: 36-line block ×3, first 2 shown]
_v_add_u32 v3, v3, s58                             // Move coutRowPtr to next row
v_cmp_lt_u32 s[58:59], v0, s[sgprSizeI]            // coord0 < size0
v_cmp_lt_u32 s[62:63], v1, s[sgprSizeJ]            // coord1 < size1
s_and_b64 s[62:63], s[58:59], s[62:63]             // in0 && in1
_v_add_lshl_u32 v182, v2, v0, 0x4                  // scaleToBpe: accumulate d0 lower and *= bpe into Cin addr
v_cndmask_b32 v182, -1, v182, s[62:63]             // LDC clip if OOB. offset
_buffer_load_b128 v[200:203], v182, s[sgprSrdC:sgprSrdC+3], 0, offen offset:0,  glc slc // load C for beta calc
_v_add_lshl_u32 v182, v3, v0, 0x4                  // scaleToBpe: accumulate d0 lower and *= bpe into Cin addr
v_cndmask_b32 v182, -1, v182, s[62:63]             // LDD clip if OOB. offset
/* (d1,vc1,d0,vc0)=(7,0,1,0) */
_v_add_co_u32 v4, vcc, v0, 32                      // coord0.1: coord0 += d0*sg0*VW + vc0
v_cmp_lt_u32 s[58:59], v4, s[sgprSizeI]            // coord0 < size0
v_cmp_lt_u32 s[62:63], v1, s[sgprSizeJ]            // coord1 < size1
s_and_b64 s[62:63], s[58:59], s[62:63]             // in0 && in1
_v_add_lshl_u32 v183, v2, v4, 0x4                  // scaleToBpe: accumulate d0 lower and *= bpe into Cin addr
v_cndmask_b32 v183, -1, v183, s[62:63]             // LDC clip if OOB. offset
_buffer_load_b128 v[208:211], v183, s[sgprSrdC:sgprSrdC+3], 0, offen offset:0,  glc slc // load C for beta calc
_v_add_lshl_u32 v183, v3, v4, 0x4                  // scaleToBpe: accumulate d0 lower and *= bpe into Cin addr
v_cndmask_b32 v183, -1, v183, s[62:63]             // LDD clip if OOB. offset
/* (d1,vc1,d0,vc0)=(7,0,2,0) */
_v_add_co_u32 v4, vcc, v0, 64                      // coord0.1: coord0 += d0*sg0*VW + vc0
v_cmp_lt_u32 s[58:59], v4, s[sgprSizeI]            // coord0 < size0
v_cmp_lt_u32 s[62:63], v1, s[sgprSizeJ]            // coord1 < size1
s_and_b64 s[62:63], s[58:59], s[62:63]             // in0 && in1
_v_add_lshl_u32 v216, v2, v4, 0x4                  // scaleToBpe: accumulate d0 lower and *= bpe into Cin addr
v_cndmask_b32 v216, -1, v216, s[62:63]             // LDC clip if OOB. offset
_buffer_load_b128 v[220:223], v216, s[sgprSrdC:sgprSrdC+3], 0, offen offset:0,  glc slc // load C for beta calc
_v_add_lshl_u32 v216, v3, v4, 0x4                  // scaleToBpe: accumulate d0 lower and *= bpe into Cin addr
v_cndmask_b32 v216, -1, v216, s[62:63]             // LDD clip if OOB. offset
s_sleep 3 // optimization: sync and wait
s_barrier
v_accvgpr_read_b32 v[vgprValuC+12], acc0 // copy acc to vreg[0]
v_accvgpr_read_b32 v[vgprValuC+13], acc1 // copy acc to vreg[1]
v_accvgpr_read_b32 v[vgprValuC+14], acc48 // copy acc to vreg[2]
v_accvgpr_read_b32 v[vgprValuC+15], acc49 // copy acc to vreg[3]
v_accvgpr_read_b32 v[vgprValuC+20], acc8 // copy acc to vreg[4]
v_accvgpr_read_b32 v[vgprValuC+21], acc9 // copy acc to vreg[5]
v_accvgpr_read_b32 v[vgprValuC+22], acc56 // copy acc to vreg[6]
v_accvgpr_read_b32 v[vgprValuC+23], acc57 // copy acc to vreg[7]
v_accvgpr_read_b32 v[vgprValuC+32], acc16 // copy acc to vreg[8]
v_accvgpr_read_b32 v[vgprValuC+33], acc17 // copy acc to vreg[9]
v_accvgpr_read_b32 v[vgprValuC+34], acc64 // copy acc to vreg[10]
v_accvgpr_read_b32 v[vgprValuC+35], acc65 // copy acc to vreg[11]
v_accvgpr_read_b32 v[vgprValuC+40], acc2 // copy acc to vreg[12]
v_accvgpr_read_b32 v[vgprValuC+41], acc3 // copy acc to vreg[13]
v_accvgpr_read_b32 v[vgprValuC+42], acc50 // copy acc to vreg[14]
v_accvgpr_read_b32 v[vgprValuC+43], acc51 // copy acc to vreg[15]
v_accvgpr_read_b32 v[vgprValuC+48], acc10 // copy acc to vreg[16]
v_accvgpr_read_b32 v[vgprValuC+49], acc11 // copy acc to vreg[17]
v_accvgpr_read_b32 v[vgprValuC+50], acc58 // copy acc to vreg[18]
v_accvgpr_read_b32 v[vgprValuC+51], acc59 // copy acc to vreg[19]
v_accvgpr_read_b32 v[vgprValuC+56], acc18 // copy acc to vreg[20]
v_accvgpr_read_b32 v[vgprValuC+57], acc19 // copy acc to vreg[21]
v_accvgpr_read_b32 v[vgprValuC+58], acc66 // copy acc to vreg[22]
v_accvgpr_read_b32 v[vgprValuC+59], acc67 // copy acc to vreg[23]
v_accvgpr_read_b32 v[vgprValuC+68], acc4 // copy acc to vreg[24]
v_accvgpr_read_b32 v[vgprValuC+69], acc5 // copy acc to vreg[25]
v_accvgpr_read_b32 v[vgprValuC+70], acc52 // copy acc to vreg[26]
v_accvgpr_read_b32 v[vgprValuC+71], acc53 // copy acc to vreg[27]
v_accvgpr_read_b32 v[vgprValuC+76], acc12 // copy acc to vreg[28]
v_accvgpr_read_b32 v[vgprValuC+77], acc13 // copy acc to vreg[29]
v_accvgpr_read_b32 v[vgprValuC+78], acc60 // copy acc to vreg[30]
v_accvgpr_read_b32 v[vgprValuC+79], acc61 // copy acc to vreg[31]
v_accvgpr_read_b32 v[vgprValuC+88], acc20 // copy acc to vreg[32]
v_accvgpr_read_b32 v[vgprValuC+89], acc21 // copy acc to vreg[33]
v_accvgpr_read_b32 v[vgprValuC+90], acc68 // copy acc to vreg[34]
v_accvgpr_read_b32 v[vgprValuC+91], acc69 // copy acc to vreg[35]
v_accvgpr_read_b32 v[vgprValuC+96], acc6 // copy acc to vreg[36]
v_accvgpr_read_b32 v[vgprValuC+97], acc7 // copy acc to vreg[37]
v_accvgpr_read_b32 v[vgprValuC+98], acc54 // copy acc to vreg[38]
v_accvgpr_read_b32 v[vgprValuC+99], acc55 // copy acc to vreg[39]
v_accvgpr_read_b32 v[vgprValuC+104], acc14 // copy acc to vreg[40]
v_accvgpr_read_b32 v[vgprValuC+105], acc15 // copy acc to vreg[41]
v_accvgpr_read_b32 v[vgprValuC+106], acc62 // copy acc to vreg[42]
v_accvgpr_read_b32 v[vgprValuC+107], acc63 // copy acc to vreg[43]
v_accvgpr_read_b32 v[vgprValuC+116], acc22 // copy acc to vreg[44]
v_accvgpr_read_b32 v[vgprValuC+117], acc23 // copy acc to vreg[45]
v_accvgpr_read_b32 v[vgprValuC+118], acc70 // copy acc to vreg[46]
v_accvgpr_read_b32 v[vgprValuC+119], acc71 // copy acc to vreg[47]
v_accvgpr_read_b32 v[vgprValuC+124], acc24 // copy acc to vreg[48]
v_accvgpr_read_b32 v[vgprValuC+125], acc25 // copy acc to vreg[49]
v_accvgpr_read_b32 v[vgprValuC+126], acc72 // copy acc to vreg[50]
v_accvgpr_read_b32 v[vgprValuC+127], acc73 // copy acc to vreg[51]
v_accvgpr_read_b32 v[vgprValuC+132], acc32 // copy acc to vreg[52]
v_accvgpr_read_b32 v[vgprValuC+133], acc33 // copy acc to vreg[53]
v_accvgpr_read_b32 v[vgprValuC+134], acc80 // copy acc to vreg[54]
v_accvgpr_read_b32 v[vgprValuC+135], acc81 // copy acc to vreg[55]
v_accvgpr_read_b32 v[vgprValuC+140], acc40 // copy acc to vreg[56]
v_accvgpr_read_b32 v[vgprValuC+141], acc41 // copy acc to vreg[57]
v_accvgpr_read_b32 v[vgprValuC+142], acc88 // copy acc to vreg[58]
v_accvgpr_read_b32 v[vgprValuC+143], acc89 // copy acc to vreg[59]
v_accvgpr_read_b32 v[vgprValuC+152], acc26 // copy acc to vreg[60]
v_accvgpr_read_b32 v[vgprValuC+153], acc27 // copy acc to vreg[61]
v_accvgpr_read_b32 v[vgprValuC+154], acc74 // copy acc to vreg[62]
v_accvgpr_read_b32 v[vgprValuC+155], acc75 // copy acc to vreg[63]
v_accvgpr_read_b32 v[vgprValuC+160], acc34 // copy acc to vreg[64]
v_accvgpr_read_b32 v[vgprValuC+161], acc35 // copy acc to vreg[65]
v_accvgpr_read_b32 v[vgprValuC+162], acc82 // copy acc to vreg[66]
v_accvgpr_read_b32 v[vgprValuC+163], acc83 // copy acc to vreg[67]
v_accvgpr_read_b32 v[vgprValuC+168], acc42 // copy acc to vreg[68]
v_accvgpr_read_b32 v[vgprValuC+169], acc43 // copy acc to vreg[69]
v_accvgpr_read_b32 v[vgprValuC+170], acc90 // copy acc to vreg[70]
v_accvgpr_read_b32 v[vgprValuC+171], acc91 // copy acc to vreg[71]
v_accvgpr_read_b32 v[vgprValuC+176], acc28 // copy acc to vreg[72]
v_accvgpr_read_b32 v[vgprValuC+177], acc29 // copy acc to vreg[73]
v_accvgpr_read_b32 v[vgprValuC+178], acc76 // copy acc to vreg[74]
v_accvgpr_read_b32 v[vgprValuC+179], acc77 // copy acc to vreg[75]
v_accvgpr_read_b32 v[vgprValuC+188], acc36 // copy acc to vreg[76]
v_accvgpr_read_b32 v[vgprValuC+189], acc37 // copy acc to vreg[77]
v_accvgpr_read_b32 v[vgprValuC+190], acc84 // copy acc to vreg[78]
v_accvgpr_read_b32 v[vgprValuC+191], acc85 // copy acc to vreg[79]
v_accvgpr_read_b32 v[vgprValuC+196], acc44 // copy acc to vreg[80]
v_accvgpr_read_b32 v[vgprValuC+197], acc45 // copy acc to vreg[81]
v_accvgpr_read_b32 v[vgprValuC+198], acc92 // copy acc to vreg[82]
v_accvgpr_read_b32 v[vgprValuC+199], acc93 // copy acc to vreg[83]
v_accvgpr_read_b32 v[vgprValuC+204], acc30 // copy acc to vreg[84]
v_accvgpr_read_b32 v[vgprValuC+205], acc31 // copy acc to vreg[85]
v_accvgpr_read_b32 v[vgprValuC+206], acc78 // copy acc to vreg[86]
v_accvgpr_read_b32 v[vgprValuC+207], acc79 // copy acc to vreg[87]
v_accvgpr_read_b32 v[vgprValuC+212], acc38 // copy acc to vreg[88]
v_accvgpr_read_b32 v[vgprValuC+213], acc39 // copy acc to vreg[89]
v_accvgpr_read_b32 v[vgprValuC+214], acc86 // copy acc to vreg[90]
v_accvgpr_read_b32 v[vgprValuC+215], acc87 // copy acc to vreg[91]
v_accvgpr_read_b32 v[vgprValuC+224], acc46 // copy acc to vreg[92]
v_accvgpr_read_b32 v[vgprValuC+225], acc47 // copy acc to vreg[93]
v_accvgpr_read_b32 v[vgprValuC+226], acc94 // copy acc to vreg[94]
v_accvgpr_read_b32 v[vgprValuC+227], acc95 // copy acc to vreg[95]
s_nop 1                                            // 2 wait states required before reading vgpr

/* rC *= alpha batchElements=[(0, 0, 0, 0), (0, 1, 0, 0), (0, 2, 0, 0), (1, 0, 0, 0), (1, 1, 0, 0), (1, 2, 0, 0), (2, 0, 0, 0), (2, 1, 0, 0), (2, 2, 0, 0), (3, 0, 0, 0), (3, 1, 0, 0), (3, 2, 0, 0), (4, 0, 0, 0), (4, 1, 0, 0), (4, 2, 0, 0), (5, 0, 0, 0), (5, 1, 0, 0), (5, 2, 0, 0), (6, 0, 0, 0), (6, 1, 0, 0), (6, 2, 0, 0), (7, 0, 0, 0), (7, 1, 0, 0), (7, 2, 0, 0)] */
v_mul_f64 v[218:219], s[sgprAlpha+0:sgprAlpha+0+1], v[vgprValuC+12:vgprValuC+12+1] // 
v_mul_f64 v[228:229], s[sgprAlpha+2:sgprAlpha+2+1], v[vgprValuC+12:vgprValuC+12+1] // 
v_fma_f64 v[vgprValuC+12:vgprValuC+12+1], s[sgprAlpha+2:sgprAlpha+2+1], -v[vgprValuC+14:vgprValuC+14+1], v[218:219]
v_fma_f64 v[vgprValuC+14:vgprValuC+14+1], s[sgprAlpha+0:sgprAlpha+0+1], v[vgprValuC+14:vgprValuC+14+1], v[228:229]
v_mul_f64 v[218:219], s[sgprAlpha+0:sgprAlpha+0+1], v[vgprValuC+20:vgprValuC+20+1] // 
v_mul_f64 v[228:229], s[sgprAlpha+2:sgprAlpha+2+1], v[vgprValuC+20:vgprValuC+20+1] // 
v_fma_f64 v[vgprValuC+20:vgprValuC+20+1], s[sgprAlpha+2:sgprAlpha+2+1], -v[vgprValuC+22:vgprValuC+22+1], v[218:219]
v_fma_f64 v[vgprValuC+22:vgprValuC+22+1], s[sgprAlpha+0:sgprAlpha+0+1], v[vgprValuC+22:vgprValuC+22+1], v[228:229]
	;; [unrolled: 4-line block ×24, first 2 shown]
s_waitcnt vmcnt(0)                                 // wait C

/* apply mask, calc new C and issue writes */
v_fma_f64 v[vgprValuC+12:vgprValuC+12+1], v[8:9], s[sgprBeta+0:sgprBeta+0+1], v[vgprValuC+12:vgprValuC+12+1]
v_fma_f64 v[vgprValuC+12:vgprValuC+12+1], v[10:11], -s[sgprBeta+2:sgprBeta+2+1], v[vgprValuC+12:vgprValuC+12+1]
v_fma_f64 v[vgprValuC+14:vgprValuC+14+1], v[8:9], s[sgprBeta+2:sgprBeta+2+1], v[vgprValuC+14:vgprValuC+14+1]
v_fma_f64 v[vgprValuC+14:vgprValuC+14+1], v[10:11], s[sgprBeta+0:sgprBeta+0+1], v[vgprValuC+14:vgprValuC+14+1]
_buffer_store_b128 v[12:15], v6, s[sgprSrdD:sgprSrdD+3], 0, offen, offset:0,  glc slc // store D
v_fma_f64 v[vgprValuC+20:vgprValuC+20+1], v[16:17], s[sgprBeta+0:sgprBeta+0+1], v[vgprValuC+20:vgprValuC+20+1]
v_fma_f64 v[vgprValuC+20:vgprValuC+20+1], v[18:19], -s[sgprBeta+2:sgprBeta+2+1], v[vgprValuC+20:vgprValuC+20+1]
v_fma_f64 v[vgprValuC+22:vgprValuC+22+1], v[16:17], s[sgprBeta+2:sgprBeta+2+1], v[vgprValuC+22:vgprValuC+22+1]
v_fma_f64 v[vgprValuC+22:vgprValuC+22+1], v[18:19], s[sgprBeta+0:sgprBeta+0+1], v[vgprValuC+22:vgprValuC+22+1]
_buffer_store_b128 v[20:23], v7, s[sgprSrdD:sgprSrdD+3], 0, offen, offset:0,  glc slc // store D
	;; [unrolled: 5-line block ×24, first 2 shown]
s_nop 0                                            // 1 wait state required when next inst writes vgprs held by previous dwordx4 store inst
s_branch label_GW_End_48                           // jump to end
label_GW_End_48:

label_0053:  /// KernelEnd
s_endpgm                                           // Kernel End

